;; amdgpu-corpus repo=ROCm/rocFFT kind=compiled arch=gfx1100 opt=O3
	.text
	.amdgcn_target "amdgcn-amd-amdhsa--gfx1100"
	.amdhsa_code_object_version 6
	.protected	bluestein_single_back_len2700_dim1_sp_op_CI_CI ; -- Begin function bluestein_single_back_len2700_dim1_sp_op_CI_CI
	.globl	bluestein_single_back_len2700_dim1_sp_op_CI_CI
	.p2align	8
	.type	bluestein_single_back_len2700_dim1_sp_op_CI_CI,@function
bluestein_single_back_len2700_dim1_sp_op_CI_CI: ; @bluestein_single_back_len2700_dim1_sp_op_CI_CI
; %bb.0:
	s_load_b128 s[16:19], s[0:1], 0x28
	v_mul_u32_u24_e32 v1, 0x2d9, v0
	s_mov_b32 s2, exec_lo
	v_mov_b32_e32 v3, 0
	s_delay_alu instid0(VALU_DEP_2) | instskip(NEXT) | instid1(VALU_DEP_1)
	v_lshrrev_b32_e32 v1, 16, v1
	v_add_nc_u32_e32 v2, s15, v1
	s_waitcnt lgkmcnt(0)
	s_delay_alu instid0(VALU_DEP_1)
	v_cmpx_gt_u64_e64 s[16:17], v[2:3]
	s_cbranch_execz .LBB0_2
; %bb.1:
	s_clause 0x1
	s_load_b128 s[4:7], s[0:1], 0x18
	s_load_b128 s[8:11], s[0:1], 0x0
	v_mul_lo_u16 v1, 0x5a, v1
	s_load_b64 s[0:1], s[0:1], 0x38
	v_mov_b32_e32 v3, v2
	s_delay_alu instid0(VALU_DEP_2) | instskip(NEXT) | instid1(VALU_DEP_1)
	v_sub_nc_u16 v48, v0, v1
	v_and_b32_e32 v0, 0xffff, v48
	s_delay_alu instid0(VALU_DEP_1) | instskip(SKIP_2) | instid1(VALU_DEP_1)
	v_dual_mov_b32 v89, v0 :: v_dual_lshlrev_b32 v38, 3, v0
	s_waitcnt lgkmcnt(0)
	s_load_b128 s[12:15], s[4:5], 0x0
	v_add_co_u32 v176, s2, s8, v38
	s_delay_alu instid0(VALU_DEP_1)
	v_add_co_ci_u32_e64 v180, null, s9, 0, s2
	v_add_nc_u32_e32 v236, 0x3800, v38
	v_add_nc_u32_e32 v244, 0x400, v38
	;; [unrolled: 1-line block ×7, first 2 shown]
	v_mov_b32_e32 v179, v38
	v_mov_b32_e32 v205, v89
	s_delay_alu instid0(VALU_DEP_2)
	v_add_nc_u32_e32 v189, 0x3000, v179
	v_add_nc_u32_e32 v185, 0x4c00, v179
	s_waitcnt lgkmcnt(0)
	v_mad_u64_u32 v[4:5], null, s14, v2, 0
	v_mad_u64_u32 v[6:7], null, s12, v0, 0
	s_mul_i32 s3, s13, 0x1c20
	s_mul_hi_u32 s4, s12, 0x1c20
	s_mul_i32 s2, s12, 0x1c20
	s_add_i32 s3, s4, s3
	s_delay_alu instid0(VALU_DEP_2)
	v_mov_b32_e32 v0, v5
	scratch_store_b64 off, v[3:4], off      ; 8-byte Folded Spill
	s_mul_hi_u32 s4, s12, 0xffffca90
	s_mul_i32 s5, s12, 0xffffca90
	s_sub_i32 s4, s4, s12
	v_mad_u64_u32 v[1:2], null, s15, v3, v[0:1]
	v_mov_b32_e32 v0, v7
	v_add_co_u32 v2, vcc_lo, 0x1000, v176
	v_add_co_ci_u32_e32 v3, vcc_lo, 0, v180, vcc_lo
	s_clause 0x1
	global_load_b64 v[24:25], v38, s[8:9]
	global_load_b64 v[22:23], v[2:3], off offset:3104
	v_mov_b32_e32 v5, v1
	v_mad_u64_u32 v[7:8], null, s13, v89, v[0:1]
	v_add_co_u32 v0, vcc_lo, 0x3000, v176
	s_delay_alu instid0(VALU_DEP_3) | instskip(SKIP_2) | instid1(VALU_DEP_4)
	v_lshlrev_b64 v[4:5], 3, v[4:5]
	v_add_co_ci_u32_e32 v1, vcc_lo, 0, v180, vcc_lo
	s_mulk_i32 s13, 0xca90
	v_lshlrev_b64 v[6:7], 3, v[6:7]
	s_add_i32 s4, s4, s13
	s_delay_alu instid0(VALU_DEP_3)
	v_add_co_u32 v4, vcc_lo, s18, v4
	v_add_co_ci_u32_e32 v5, vcc_lo, s19, v5, vcc_lo
	global_load_b64 v[20:21], v[0:1], off offset:2112
	v_add_co_u32 v4, vcc_lo, v4, v6
	v_add_co_ci_u32_e32 v5, vcc_lo, v5, v7, vcc_lo
	v_add_nc_u32_e32 v234, 0x3c00, v179
	s_delay_alu instid0(VALU_DEP_3) | instskip(NEXT) | instid1(VALU_DEP_3)
	v_add_co_u32 v6, vcc_lo, v4, s2
	v_add_co_ci_u32_e32 v7, vcc_lo, s3, v5, vcc_lo
	global_load_b64 v[10:11], v[4:5], off
	v_add_co_u32 v12, vcc_lo, v6, s2
	v_add_co_ci_u32_e32 v13, vcc_lo, s3, v7, vcc_lo
	s_clause 0x1
	global_load_b64 v[8:9], v[12:13], off
	global_load_b64 v[4:5], v[6:7], off
	v_add_co_u32 v12, vcc_lo, v12, s5
	v_add_co_ci_u32_e32 v13, vcc_lo, s4, v13, vcc_lo
	global_load_b64 v[26:27], v38, s[8:9] offset:720
	global_load_b64 v[6:7], v[12:13], off
	v_add_co_u32 v12, vcc_lo, v12, s2
	v_add_co_ci_u32_e32 v13, vcc_lo, s3, v13, vcc_lo
	global_load_b64 v[30:31], v[2:3], off offset:3824
	global_load_b64 v[14:15], v[12:13], off
	s_clause 0x2
	global_load_b64 v[32:33], v38, s[8:9] offset:1440
	global_load_b64 v[28:29], v38, s[8:9] offset:2160
	global_load_b64 v[34:35], v[0:1], off offset:2832
	v_add_co_u32 v12, vcc_lo, v12, s2
	v_add_co_ci_u32_e32 v13, vcc_lo, s3, v13, vcc_lo
	s_waitcnt vmcnt(11)
	v_dual_mov_b32 v37, v23 :: v_dual_mov_b32 v36, v22
	s_waitcnt vmcnt(10)
	scratch_store_b64 off, v[20:21], off offset:200 ; 8-byte Folded Spill
	s_waitcnt vmcnt(9)
	v_mul_f32_e32 v16, v11, v25
	v_mul_f32_e32 v17, v10, v25
	s_delay_alu instid0(VALU_DEP_1)
	v_fma_f32 v17, v11, v24, -v17
	s_waitcnt vmcnt(7)
	v_mul_f32_e32 v19, v4, v23
	v_mul_f32_e32 v18, v5, v23
	v_fmac_f32_e32 v16, v10, v24
	v_add_co_u32 v10, vcc_lo, v12, s5
	s_delay_alu instid0(VALU_DEP_4) | instskip(SKIP_4) | instid1(VALU_DEP_4)
	v_fma_f32 v19, v5, v36, -v19
	v_mul_f32_e32 v5, v8, v21
	v_fmac_f32_e32 v18, v4, v36
	v_mul_f32_e32 v4, v9, v21
	v_add_co_ci_u32_e32 v11, vcc_lo, s4, v13, vcc_lo
	v_fma_f32 v5, v9, v20, -v5
	s_waitcnt vmcnt(5)
	s_delay_alu instid0(VALU_DEP_3)
	v_dual_mul_f32 v9, v6, v27 :: v_dual_fmac_f32 v4, v8, v20
	v_mul_f32_e32 v8, v7, v27
	ds_store_b64 v38, v[18:19] offset:7200
	s_clause 0x1
	scratch_store_b64 off, v[36:37], off offset:232
	scratch_store_b64 off, v[26:27], off offset:240
	v_fma_f32 v9, v7, v26, -v9
	v_fmac_f32_e32 v8, v6, v26
	v_add_co_u32 v6, vcc_lo, v10, s2
	v_add_co_ci_u32_e32 v7, vcc_lo, s3, v11, vcc_lo
	ds_store_b64 v38, v[4:5] offset:14400
	ds_store_2addr_b64 v38, v[16:17], v[8:9] offset1:90
	v_add_co_u32 v8, vcc_lo, 0x2000, v176
	v_add_co_ci_u32_e32 v9, vcc_lo, 0, v180, vcc_lo
	global_load_b64 v[16:17], v[6:7], off
	s_waitcnt vmcnt(4)
	v_mul_f32_e32 v4, v15, v31
	v_mul_f32_e32 v5, v14, v31
	global_load_b64 v[26:27], v[8:9], off offset:448
	s_clause 0x1
	scratch_store_b64 off, v[24:25], off offset:184
	scratch_store_b64 off, v[30:31], off offset:208
	v_fmac_f32_e32 v4, v14, v30
	v_fma_f32 v5, v15, v30, -v5
	global_load_b64 v[22:23], v[0:1], off offset:1392
	s_waitcnt vmcnt(1)
	v_mul_f32_e32 v14, v16, v27
	scratch_store_b64 off, v[26:27], off offset:152 ; 8-byte Folded Spill
	s_clause 0x2
	global_load_b64 v[24:25], v[8:9], off offset:1168
	global_load_b64 v[18:19], v[8:9], off offset:1888
	;; [unrolled: 1-line block ×3, first 2 shown]
	s_clause 0x1
	scratch_store_b64 off, v[34:35], off offset:216
	scratch_store_b64 off, v[32:33], off offset:224
	v_fma_f32 v15, v17, v26, -v14
	v_mul_f32_e32 v14, v17, v27
	s_delay_alu instid0(VALU_DEP_1)
	v_fmac_f32_e32 v14, v16, v26
	v_add_nc_u32_e32 v16, 0x1c00, v38
	ds_store_2addr_b64 v16, v[4:5], v[14:15] offset0:94 offset1:184
	v_add_co_u32 v4, vcc_lo, v6, s2
	v_add_co_ci_u32_e32 v5, vcc_lo, s3, v7, vcc_lo
	global_load_b64 v[6:7], v[12:13], off
	v_mov_b32_e32 v220, v16
	global_load_b64 v[16:17], v[0:1], off offset:3552
	s_waitcnt vmcnt(4)
	scratch_store_b64 off, v[24:25], off offset:176 ; 8-byte Folded Spill
	s_waitcnt vmcnt(3)
	scratch_store_b64 off, v[18:19], off offset:96 ; 8-byte Folded Spill
	s_waitcnt vmcnt(1)
	v_mul_f32_e32 v12, v6, v35
	s_waitcnt vmcnt(0)
	s_clause 0x1
	scratch_store_b64 off, v[16:17], off offset:144
	scratch_store_b64 off, v[28:29], off offset:192
	v_fma_f32 v13, v7, v34, -v12
	v_mul_f32_e32 v12, v7, v35
	s_delay_alu instid0(VALU_DEP_1)
	v_fmac_f32_e32 v12, v6, v34
	global_load_b64 v[6:7], v[4:5], off
	v_add_co_u32 v4, vcc_lo, v4, s5
	v_add_co_ci_u32_e32 v5, vcc_lo, s4, v5, vcc_lo
	s_waitcnt vmcnt(0)
	v_mul_f32_e32 v14, v6, v17
	s_delay_alu instid0(VALU_DEP_1) | instskip(SKIP_1) | instid1(VALU_DEP_1)
	v_fma_f32 v15, v7, v16, -v14
	v_mul_f32_e32 v14, v7, v17
	v_fmac_f32_e32 v14, v6, v16
	global_load_b64 v[6:7], v[10:11], off
	ds_store_2addr_b64 v236, v[12:13], v[14:15] offset0:98 offset1:188
	s_waitcnt vmcnt(0)
	v_mul_f32_e32 v10, v6, v33
	s_delay_alu instid0(VALU_DEP_1) | instskip(SKIP_1) | instid1(VALU_DEP_1)
	v_fma_f32 v11, v7, v32, -v10
	v_mul_f32_e32 v10, v7, v33
	v_fmac_f32_e32 v10, v6, v32
	global_load_b64 v[6:7], v[4:5], off
	v_add_co_u32 v4, vcc_lo, v4, s2
	v_add_co_ci_u32_e32 v5, vcc_lo, s3, v5, vcc_lo
	s_waitcnt vmcnt(0)
	v_mul_f32_e32 v12, v6, v29
	s_delay_alu instid0(VALU_DEP_1) | instskip(SKIP_1) | instid1(VALU_DEP_1)
	v_fma_f32 v13, v7, v28, -v12
	v_mul_f32_e32 v12, v7, v29
	v_fmac_f32_e32 v12, v6, v28
	v_add_co_u32 v6, vcc_lo, v4, s2
	v_add_co_ci_u32_e32 v7, vcc_lo, s3, v5, vcc_lo
	global_load_b64 v[4:5], v[4:5], off
	ds_store_2addr_b64 v244, v[10:11], v[12:13] offset0:52 offset1:142
	s_waitcnt vmcnt(0)
	v_mul_f32_e32 v10, v4, v25
	s_delay_alu instid0(VALU_DEP_1) | instskip(SKIP_1) | instid1(VALU_DEP_1)
	v_fma_f32 v11, v5, v24, -v10
	v_mul_f32_e32 v10, v5, v25
	v_fmac_f32_e32 v10, v4, v24
	v_add_co_u32 v4, vcc_lo, v6, s5
	v_add_co_ci_u32_e32 v5, vcc_lo, s4, v7, vcc_lo
	s_delay_alu instid0(VALU_DEP_2) | instskip(NEXT) | instid1(VALU_DEP_2)
	v_add_co_u32 v12, vcc_lo, v4, s2
	v_add_co_ci_u32_e32 v13, vcc_lo, s3, v5, vcc_lo
	global_load_b64 v[14:15], v[12:13], off
	s_waitcnt vmcnt(0)
	v_mul_f32_e32 v16, v14, v19
	s_delay_alu instid0(VALU_DEP_1) | instskip(SKIP_1) | instid1(VALU_DEP_1)
	v_fma_f32 v16, v15, v18, -v16
	v_mul_f32_e32 v15, v15, v19
	v_fmac_f32_e32 v15, v14, v18
	ds_store_2addr_b64 v243, v[10:11], v[15:16] offset0:146 offset1:236
	v_add_co_u32 v10, vcc_lo, v12, s2
	v_add_co_ci_u32_e32 v11, vcc_lo, s3, v13, vcc_lo
	v_add_co_u32 v12, vcc_lo, 0x4000, v176
	v_add_co_ci_u32_e32 v13, vcc_lo, 0, v180, vcc_lo
	global_load_b64 v[6:7], v[6:7], off
	s_clause 0x1
	global_load_b64 v[16:17], v[12:13], off offset:176
	global_load_b64 v[24:25], v[12:13], off offset:896
	s_waitcnt vmcnt(1)
	v_mul_f32_e32 v14, v6, v17
	scratch_store_b64 off, v[16:17], off offset:160 ; 8-byte Folded Spill
	s_waitcnt vmcnt(0)
	scratch_store_b64 off, v[24:25], off offset:104 ; 8-byte Folded Spill
	s_clause 0x1
	global_load_b64 v[26:27], v[12:13], off offset:1616
	global_load_b64 v[18:19], v[12:13], off offset:2336
	v_fma_f32 v15, v7, v16, -v14
	v_mul_f32_e32 v14, v7, v17
	s_delay_alu instid0(VALU_DEP_1) | instskip(SKIP_3) | instid1(VALU_DEP_1)
	v_fmac_f32_e32 v14, v6, v16
	global_load_b64 v[6:7], v[10:11], off
	s_waitcnt vmcnt(0)
	v_mul_f32_e32 v16, v6, v25
	v_fma_f32 v17, v7, v24, -v16
	v_mul_f32_e32 v16, v7, v25
	s_delay_alu instid0(VALU_DEP_1)
	v_fmac_f32_e32 v16, v6, v24
	v_add_co_u32 v6, vcc_lo, v10, s5
	v_add_co_ci_u32_e32 v7, vcc_lo, s4, v11, vcc_lo
	ds_store_2addr_b64 v232, v[14:15], v[16:17] offset0:22 offset1:112
	global_load_b64 v[4:5], v[4:5], off
	s_clause 0x2
	global_load_b64 v[14:15], v38, s[8:9] offset:2880
	global_load_b64 v[16:17], v38, s[8:9] offset:3600
	global_load_b64 v[24:25], v[8:9], off offset:3328
	scratch_store_b64 off, v[20:21], off offset:112 ; 8-byte Folded Spill
	s_waitcnt vmcnt(2)
	v_mul_f32_e32 v10, v4, v15
	scratch_store_b64 off, v[14:15], off offset:168 ; 8-byte Folded Spill
	s_waitcnt vmcnt(1)
	scratch_store_b64 off, v[16:17], off offset:120 ; 8-byte Folded Spill
	s_waitcnt vmcnt(0)
	scratch_store_b64 off, v[24:25], off offset:56 ; 8-byte Folded Spill
	v_fma_f32 v11, v5, v14, -v10
	v_mul_f32_e32 v10, v5, v15
	s_delay_alu instid0(VALU_DEP_1) | instskip(SKIP_3) | instid1(VALU_DEP_1)
	v_fmac_f32_e32 v10, v4, v14
	global_load_b64 v[4:5], v[6:7], off
	s_waitcnt vmcnt(0)
	v_mul_f32_e32 v14, v4, v17
	v_fma_f32 v15, v5, v16, -v14
	v_mul_f32_e32 v14, v5, v17
	s_delay_alu instid0(VALU_DEP_1)
	v_fmac_f32_e32 v14, v4, v16
	v_add_co_u32 v4, vcc_lo, v6, s2
	v_add_co_ci_u32_e32 v5, vcc_lo, s3, v7, vcc_lo
	ds_store_2addr_b64 v233, v[10:11], v[14:15] offset0:104 offset1:194
	v_add_co_u32 v6, vcc_lo, v4, s2
	v_add_co_ci_u32_e32 v7, vcc_lo, s3, v5, vcc_lo
	global_load_b64 v[4:5], v[4:5], off
	s_waitcnt vmcnt(0)
	v_mul_f32_e32 v10, v4, v21
	s_delay_alu instid0(VALU_DEP_1) | instskip(SKIP_1) | instid1(VALU_DEP_1)
	v_fma_f32 v11, v5, v20, -v10
	v_mul_f32_e32 v10, v5, v21
	v_fmac_f32_e32 v10, v4, v20
	v_add_co_u32 v4, vcc_lo, v6, s5
	v_add_co_ci_u32_e32 v5, vcc_lo, s4, v7, vcc_lo
	s_delay_alu instid0(VALU_DEP_2) | instskip(NEXT) | instid1(VALU_DEP_2)
	v_add_co_u32 v14, vcc_lo, v4, s2
	v_add_co_ci_u32_e32 v15, vcc_lo, s3, v5, vcc_lo
	global_load_b64 v[20:21], v[8:9], off offset:4048
	global_load_b64 v[8:9], v[14:15], off
	global_load_b64 v[6:7], v[6:7], off
	s_clause 0x1
	scratch_store_b64 off, v[26:27], off offset:128
	scratch_store_b64 off, v[18:19], off offset:40
	s_waitcnt vmcnt(1)
	v_mul_f32_e32 v16, v8, v25
	s_delay_alu instid0(VALU_DEP_1) | instskip(SKIP_1) | instid1(VALU_DEP_1)
	v_fma_f32 v17, v9, v24, -v16
	v_mul_f32_e32 v16, v9, v25
	v_fmac_f32_e32 v16, v8, v24
	v_add_nc_u32_e32 v8, 0x2800, v38
	ds_store_2addr_b64 v8, v[10:11], v[16:17] offset0:70 offset1:160
	s_waitcnt vmcnt(0)
	v_mul_f32_e32 v10, v6, v27
	v_mov_b32_e32 v222, v8
	v_add_co_u32 v8, vcc_lo, v14, s2
	v_add_co_ci_u32_e32 v9, vcc_lo, s3, v15, vcc_lo
	s_delay_alu instid0(VALU_DEP_4) | instskip(SKIP_1) | instid1(VALU_DEP_1)
	v_fma_f32 v11, v7, v26, -v10
	v_mul_f32_e32 v10, v7, v27
	v_fmac_f32_e32 v10, v6, v26
	global_load_b64 v[6:7], v[8:9], off
	s_waitcnt vmcnt(0)
	v_mul_f32_e32 v14, v6, v19
	s_delay_alu instid0(VALU_DEP_1) | instskip(SKIP_1) | instid1(VALU_DEP_1)
	v_fma_f32 v15, v7, v18, -v14
	v_mul_f32_e32 v14, v7, v19
	v_fmac_f32_e32 v14, v6, v18
	v_add_nc_u32_e32 v6, 0x4400, v38
	ds_store_2addr_b64 v6, v[10:11], v[14:15] offset0:74 offset1:164
	v_add_co_u32 v6, vcc_lo, v8, s5
	v_add_co_ci_u32_e32 v7, vcc_lo, s4, v9, vcc_lo
	global_load_b64 v[4:5], v[4:5], off
	s_clause 0x1
	global_load_b64 v[8:9], v[2:3], off offset:224
	global_load_b64 v[10:11], v[2:3], off offset:944
	s_waitcnt vmcnt(1)
	scratch_store_b64 off, v[8:9], off offset:136 ; 8-byte Folded Spill
	s_waitcnt vmcnt(0)
	scratch_store_b64 off, v[10:11], off offset:88 ; 8-byte Folded Spill
	s_clause 0x1
	global_load_b64 v[18:19], v[2:3], off offset:1664
	global_load_b64 v[14:15], v[2:3], off offset:2384
	v_mul_f32_e32 v2, v4, v9
	global_load_b64 v[16:17], v[0:1], off offset:672
	scratch_store_b64 off, v[20:21], off offset:80 ; 8-byte Folded Spill
	v_fma_f32 v3, v5, v8, -v2
	v_mul_f32_e32 v2, v5, v9
	s_delay_alu instid0(VALU_DEP_1)
	v_fmac_f32_e32 v2, v4, v8
	global_load_b64 v[4:5], v[6:7], off
	s_waitcnt vmcnt(1)
	scratch_store_b64 off, v[16:17], off offset:8 ; 8-byte Folded Spill
	s_waitcnt vmcnt(0)
	v_mul_f32_e32 v8, v4, v11
	s_delay_alu instid0(VALU_DEP_1) | instskip(SKIP_1) | instid1(VALU_DEP_1)
	v_fma_f32 v9, v5, v10, -v8
	v_mul_f32_e32 v8, v5, v11
	v_fmac_f32_e32 v8, v4, v10
	ds_store_2addr_b64 v187, v[2:3], v[8:9] offset0:28 offset1:118
	v_add_co_u32 v2, vcc_lo, v6, s2
	v_add_co_ci_u32_e32 v3, vcc_lo, s3, v7, vcc_lo
	s_delay_alu instid0(VALU_DEP_2) | instskip(NEXT) | instid1(VALU_DEP_2)
	v_add_co_u32 v4, vcc_lo, v2, s2
	v_add_co_ci_u32_e32 v5, vcc_lo, s3, v3, vcc_lo
	global_load_b64 v[2:3], v[2:3], off
	s_waitcnt vmcnt(0)
	v_mul_f32_e32 v6, v2, v21
	s_delay_alu instid0(VALU_DEP_1) | instskip(SKIP_1) | instid1(VALU_DEP_1)
	v_fma_f32 v7, v3, v20, -v6
	v_mul_f32_e32 v6, v3, v21
	v_fmac_f32_e32 v6, v2, v20
	v_add_co_u32 v2, vcc_lo, v4, s5
	v_add_co_ci_u32_e32 v3, vcc_lo, s4, v5, vcc_lo
	s_delay_alu instid0(VALU_DEP_2) | instskip(NEXT) | instid1(VALU_DEP_2)
	v_add_co_u32 v8, vcc_lo, v2, s2
	v_add_co_ci_u32_e32 v9, vcc_lo, s3, v3, vcc_lo
	global_load_b64 v[0:1], v[8:9], off
	s_waitcnt vmcnt(0)
	v_mul_f32_e32 v10, v0, v17
	s_delay_alu instid0(VALU_DEP_1) | instskip(SKIP_1) | instid1(VALU_DEP_1)
	v_fma_f32 v11, v1, v16, -v10
	v_mul_f32_e32 v10, v1, v17
	v_fmac_f32_e32 v10, v0, v16
	v_add_nc_u32_e32 v0, 0x2c00, v38
	ds_store_2addr_b64 v0, v[6:7], v[10:11] offset0:122 offset1:212
	v_add_co_u32 v0, vcc_lo, v8, s2
	global_load_b64 v[4:5], v[4:5], off
	s_clause 0x1
	global_load_b64 v[7:8], v[12:13], off offset:3056
	global_load_b64 v[10:11], v[12:13], off offset:3776
	v_add_co_ci_u32_e32 v1, vcc_lo, s3, v9, vcc_lo
	global_load_b64 v[2:3], v[2:3], off
	s_clause 0x1
	scratch_store_b64 off, v[18:19], off offset:72
	scratch_store_b64 off, v[22:23], off offset:32
	s_waitcnt vmcnt(2)
	v_mul_f32_e32 v6, v4, v8
	s_waitcnt vmcnt(1)
	s_clause 0x2
	scratch_store_b64 off, v[10:11], off offset:16
	scratch_store_b64 off, v[7:8], off offset:64
	;; [unrolled: 1-line block ×3, first 2 shown]
	v_fma_f32 v6, v5, v7, -v6
	v_mul_f32_e32 v5, v5, v8
	s_delay_alu instid0(VALU_DEP_1)
	v_fmac_f32_e32 v5, v4, v7
	global_load_b64 v[7:8], v[0:1], off
	v_add_co_u32 v0, vcc_lo, v0, s5
	v_add_co_ci_u32_e32 v1, vcc_lo, s4, v1, vcc_lo
	s_waitcnt vmcnt(0)
	v_mul_f32_e32 v4, v7, v11
	s_delay_alu instid0(VALU_DEP_1) | instskip(SKIP_2) | instid1(VALU_DEP_1)
	v_fma_f32 v9, v8, v10, -v4
	v_mul_f32_e32 v8, v8, v11
	v_add_nc_u32_e32 v4, 0x4800, v38
	v_dual_fmac_f32 v8, v7, v10 :: v_dual_mov_b32 v27, v4
	ds_store_2addr_b64 v4, v[5:6], v[8:9] offset0:126 offset1:216
	global_load_b64 v[5:6], v[0:1], off
	v_mul_f32_e32 v4, v2, v19
	v_add_co_u32 v0, vcc_lo, v0, s2
	v_add_co_ci_u32_e32 v1, vcc_lo, s3, v1, vcc_lo
	s_delay_alu instid0(VALU_DEP_3) | instskip(SKIP_1) | instid1(VALU_DEP_1)
	v_fma_f32 v4, v3, v18, -v4
	v_mul_f32_e32 v3, v3, v19
	v_dual_mov_b32 v224, v27 :: v_dual_fmac_f32 v3, v2, v18
	s_waitcnt vmcnt(0)
	v_mul_f32_e32 v2, v5, v15
	s_delay_alu instid0(VALU_DEP_1) | instskip(SKIP_2) | instid1(VALU_DEP_2)
	v_fma_f32 v7, v6, v14, -v2
	v_mul_f32_e32 v6, v6, v15
	v_add_nc_u32_e32 v2, 0x1400, v38
	v_fmac_f32_e32 v6, v5, v14
	s_delay_alu instid0(VALU_DEP_2)
	v_mov_b32_e32 v208, v2
	ds_store_2addr_b64 v2, v[3:4], v[6:7] offset0:80 offset1:170
	v_add_co_u32 v2, vcc_lo, v0, s2
	v_add_co_ci_u32_e32 v3, vcc_lo, s3, v1, vcc_lo
	global_load_b64 v[0:1], v[0:1], off
	v_add_co_u32 v237, vcc_lo, 0x5000, v176
	v_add_co_ci_u32_e32 v238, vcc_lo, 0, v180, vcc_lo
	v_cmp_gt_u16_e32 vcc_lo, 30, v48
	s_waitcnt vmcnt(0)
	v_mul_f32_e32 v4, v0, v23
	s_delay_alu instid0(VALU_DEP_1) | instskip(SKIP_1) | instid1(VALU_DEP_1)
	v_fma_f32 v5, v1, v22, -v4
	v_mul_f32_e32 v4, v1, v23
	v_fmac_f32_e32 v4, v0, v22
	global_load_b64 v[0:1], v[2:3], off
	global_load_b64 v[6:7], v[237:238], off offset:400
	s_waitcnt vmcnt(0)
	v_mul_f32_e32 v2, v0, v7
	scratch_store_b64 off, v[6:7], off offset:24 ; 8-byte Folded Spill
	v_fma_f32 v2, v1, v6, -v2
	v_mul_f32_e32 v1, v1, v7
	s_delay_alu instid0(VALU_DEP_1)
	v_fmac_f32_e32 v1, v0, v6
	ds_store_b64 v38, v[4:5] offset:13680
	ds_store_b64 v38, v[1:2] offset:20880
	s_load_b128 s[4:7], s[6:7], 0x0
	s_waitcnt lgkmcnt(0)
	s_waitcnt_vscnt null, 0x0
	s_barrier
	buffer_gl0_inv
	ds_load_2addr_b64 v[58:61], v38 offset1:90
	ds_load_2addr_b64 v[0:3], v235 offset0:132 offset1:222
	ds_load_2addr_b64 v[4:7], v236 offset0:8 offset1:98
	s_mul_hi_u32 s3, s4, 0x1c20
	s_waitcnt lgkmcnt(1)
	v_add_f32_e32 v8, v58, v0
	s_waitcnt lgkmcnt(0)
	v_dual_add_f32 v49, v0, v4 :: v_dual_sub_f32 v72, v1, v5
	v_add_f32_e32 v9, v59, v1
	v_dual_add_f32 v73, v1, v5 :: v_dual_sub_f32 v74, v0, v4
	v_dual_add_f32 v0, v60, v2 :: v_dual_add_f32 v1, v61, v3
	v_dual_add_f32 v75, v2, v6 :: v_dual_sub_f32 v76, v3, v7
	v_dual_add_f32 v77, v3, v7 :: v_dual_sub_f32 v78, v2, v6
	v_dual_add_f32 v66, v8, v4 :: v_dual_add_f32 v67, v9, v5
	s_delay_alu instid0(VALU_DEP_4)
	v_dual_add_f32 v68, v0, v6 :: v_dual_add_f32 v69, v1, v7
	ds_load_2addr_b64 v[0:3], v244 offset0:52 offset1:142
	ds_load_2addr_b64 v[4:7], v243 offset0:56 offset1:146
	;; [unrolled: 1-line block ×3, first 2 shown]
	v_fma_f32 v60, -0.5, v75, v60
	s_waitcnt lgkmcnt(1)
	v_dual_fmac_f32 v61, -0.5, v77 :: v_dual_add_f32 v12, v0, v4
	s_waitcnt lgkmcnt(0)
	v_dual_add_f32 v79, v4, v8 :: v_dual_sub_f32 v80, v5, v9
	v_add_f32_e32 v13, v1, v5
	v_dual_add_f32 v81, v5, v9 :: v_dual_sub_f32 v82, v4, v8
	v_dual_add_f32 v4, v2, v6 :: v_dual_add_f32 v5, v3, v7
	v_add_f32_e32 v70, v12, v8
	v_dual_add_f32 v83, v6, v10 :: v_dual_add_nc_u32 v12, 0x2400, v179
	v_sub_f32_e32 v84, v7, v11
	v_dual_add_f32 v85, v7, v11 :: v_dual_sub_f32 v86, v6, v10
	v_dual_add_f32 v71, v13, v9 :: v_dual_add_f32 v16, v4, v10
	v_add_f32_e32 v17, v5, v11
	ds_load_2addr_b64 v[4:7], v233 offset0:104 offset1:194
	ds_load_2addr_b64 v[8:11], v12 offset0:108 offset1:198
	v_mov_b32_e32 v207, v12
	ds_load_2addr_b64 v[12:15], v232 offset0:112 offset1:202
	v_fma_f32 v0, -0.5, v79, v0
	v_fma_f32 v1, -0.5, v81, v1
	;; [unrolled: 1-line block ×3, first 2 shown]
	s_waitcnt lgkmcnt(1)
	v_dual_fmac_f32 v3, -0.5, v85 :: v_dual_add_f32 v18, v4, v8
	s_waitcnt lgkmcnt(0)
	v_dual_add_f32 v19, v5, v9 :: v_dual_add_f32 v46, v8, v12
	v_sub_f32_e32 v40, v9, v13
	v_dual_add_f32 v52, v9, v13 :: v_dual_sub_f32 v43, v8, v12
	v_dual_add_f32 v8, v6, v10 :: v_dual_add_f32 v9, v7, v11
	v_dual_add_f32 v35, v10, v14 :: v_dual_sub_f32 v32, v11, v15
	v_dual_add_f32 v38, v11, v15 :: v_dual_sub_f32 v33, v10, v14
	v_dual_add_f32 v24, v18, v12 :: v_dual_add_f32 v25, v19, v13
	s_delay_alu instid0(VALU_DEP_4)
	v_dual_add_f32 v18, v8, v14 :: v_dual_add_f32 v19, v9, v15
	ds_load_2addr_b64 v[8:11], v187 offset0:28 offset1:118
	ds_load_2addr_b64 v[12:15], v222 offset0:160 offset1:250
	;; [unrolled: 1-line block ×3, first 2 shown]
	v_fma_f32 v6, -0.5, v35, v6
	s_waitcnt lgkmcnt(1)
	v_dual_fmac_f32 v7, -0.5, v38 :: v_dual_add_f32 v26, v8, v12
	s_waitcnt lgkmcnt(0)
	v_add_f32_e32 v50, v12, v20
	v_sub_f32_e32 v44, v13, v21
	v_add_f32_e32 v27, v9, v13
	v_dual_add_f32 v54, v13, v21 :: v_dual_sub_f32 v47, v12, v20
	v_dual_add_f32 v12, v10, v14 :: v_dual_add_f32 v13, v11, v15
	v_dual_add_f32 v37, v14, v22 :: v_dual_sub_f32 v34, v15, v23
	v_dual_add_f32 v41, v15, v23 :: v_dual_sub_f32 v36, v14, v22
	v_dual_add_f32 v26, v26, v20 :: v_dual_add_f32 v27, v27, v21
	s_delay_alu instid0(VALU_DEP_4)
	v_dual_add_f32 v20, v12, v22 :: v_dual_add_f32 v21, v13, v23
	ds_load_2addr_b64 v[12:15], v208 offset0:80 offset1:170
	ds_load_2addr_b64 v[28:31], v189 offset0:84 offset1:174
	;; [unrolled: 1-line block ×3, first 2 shown]
	v_fma_f32 v10, -0.5, v37, v10
	v_fmac_f32_e32 v11, -0.5, v41
	s_waitcnt lgkmcnt(1)
	v_add_f32_e32 v87, v14, v30
	s_waitcnt lgkmcnt(0)
	v_add_f32_e32 v45, v30, v64
	v_sub_f32_e32 v42, v30, v64
	v_fma_f32 v30, -0.5, v49, v58
	v_mul_lo_u16 v49, v48, 3
	v_sub_f32_e32 v39, v31, v65
	v_add_f32_e32 v88, v15, v31
	v_add_f32_e32 v51, v31, v65
	v_fma_f32 v31, -0.5, v73, v59
	v_and_b32_e32 v49, 0xffff, v49
	v_fmamk_f32 v58, v72, 0x3f5db3d7, v30
	v_fmac_f32_e32 v30, 0xbf5db3d7, v72
	s_delay_alu instid0(VALU_DEP_4) | instskip(NEXT) | instid1(VALU_DEP_4)
	v_dual_add_f32 v56, v28, v62 :: v_dual_fmamk_f32 v59, v74, 0xbf5db3d7, v31
	v_lshlrev_b32_e32 v49, 3, v49
	v_fmac_f32_e32 v31, 0x3f5db3d7, v74
	v_dual_add_f32 v57, v29, v63 :: v_dual_add_f32 v22, v12, v28
	v_sub_f32_e32 v53, v29, v63
	scratch_store_b32 off, v49, off offset:260 ; 4-byte Folded Spill
	s_waitcnt_vscnt null, 0x0
	s_barrier
	buffer_gl0_inv
	ds_store_2addr_b64 v49, v[66:67], v[58:59] offset1:1
	ds_store_b64 v49, v[30:31] offset:16
	v_add_co_u32 v31, null, 0x5a, v89
	v_fmamk_f32 v58, v76, 0x3f5db3d7, v60
	v_dual_fmamk_f32 v59, v78, 0xbf5db3d7, v61 :: v_dual_fmac_f32 v60, 0xbf5db3d7, v76
	s_delay_alu instid0(VALU_DEP_3)
	v_mul_u32_u24_e32 v30, 3, v31
	v_fmac_f32_e32 v61, 0x3f5db3d7, v78
	v_add_f32_e32 v23, v13, v29
	v_sub_f32_e32 v55, v28, v62
	v_add_f32_e32 v28, v22, v62
	v_dual_fmac_f32 v15, -0.5, v51 :: v_dual_lshlrev_b32 v30, 3, v30
	s_delay_alu instid0(VALU_DEP_4)
	v_add_f32_e32 v29, v23, v63
	v_add_co_u32 v51, null, 0x32a, v89
	scratch_store_b32 off, v30, off offset:256 ; 4-byte Folded Spill
	ds_store_2addr_b64 v30, v[68:69], v[58:59] offset1:1
	ds_store_b64 v30, v[60:61] offset:16
	v_add_co_u32 v30, null, 0xb4, v89
	v_fmamk_f32 v58, v80, 0x3f5db3d7, v0
	v_dual_fmamk_f32 v59, v82, 0xbf5db3d7, v1 :: v_dual_fmac_f32 v0, 0xbf5db3d7, v80
	s_delay_alu instid0(VALU_DEP_3)
	v_mul_u32_u24_e32 v49, 3, v30
	v_fmac_f32_e32 v1, 0x3f5db3d7, v82
	v_add_nc_u32_e32 v60, 0x168, v89
	v_add_nc_u32_e32 v61, 0x1c2, v89
	v_fma_f32 v14, -0.5, v45, v14
	v_dual_add_f32 v22, v87, v64 :: v_dual_lshlrev_b32 v49, 3, v49
	v_add_f32_e32 v23, v88, v65
	scratch_store_b32 off, v49, off offset:252 ; 4-byte Folded Spill
	ds_store_2addr_b64 v49, v[70:71], v[58:59] offset1:1
	ds_store_b64 v49, v[0:1] offset:16
	v_add_co_u32 v49, s2, 0x10e, v89
	v_fmamk_f32 v0, v84, 0x3f5db3d7, v2
	v_dual_fmamk_f32 v1, v86, 0xbf5db3d7, v3 :: v_dual_fmac_f32 v2, 0xbf5db3d7, v84
	s_delay_alu instid0(VALU_DEP_3) | instskip(SKIP_3) | instid1(VALU_DEP_4)
	v_mul_u32_u24_e32 v58, 3, v49
	v_fmac_f32_e32 v3, 0x3f5db3d7, v86
	v_add_co_u32 v59, null, 0x276, v89
	v_add_co_ci_u32_e64 v62, null, 0, 0, s2
	v_lshlrev_b32_e32 v58, 3, v58
	scratch_store_b32 off, v58, off offset:468 ; 4-byte Folded Spill
	ds_store_2addr_b64 v58, v[16:17], v[0:1] offset1:1
	ds_store_b64 v58, v[2:3] offset:16
	v_fma_f32 v0, -0.5, v46, v4
	v_fma_f32 v1, -0.5, v52, v5
	v_mul_u32_u24_e32 v4, 3, v60
	v_add_co_u32 v58, null, 0x21c, v89
	s_delay_alu instid0(VALU_DEP_4) | instskip(NEXT) | instid1(VALU_DEP_3)
	v_fmamk_f32 v2, v40, 0x3f5db3d7, v0
	v_dual_fmamk_f32 v3, v43, 0xbf5db3d7, v1 :: v_dual_lshlrev_b32 v4, 3, v4
	v_fmac_f32_e32 v0, 0xbf5db3d7, v40
	v_fmac_f32_e32 v1, 0x3f5db3d7, v43
	scratch_store_b32 off, v4, off offset:464 ; 4-byte Folded Spill
	ds_store_2addr_b64 v4, v[24:25], v[2:3] offset1:1
	ds_store_b64 v4, v[0:1] offset:16
	v_mul_u32_u24_e32 v2, 3, v61
	v_fmamk_f32 v0, v32, 0x3f5db3d7, v6
	v_dual_fmamk_f32 v1, v33, 0xbf5db3d7, v7 :: v_dual_fmac_f32 v6, 0xbf5db3d7, v32
	s_delay_alu instid0(VALU_DEP_3)
	v_dual_fmac_f32 v7, 0x3f5db3d7, v33 :: v_dual_lshlrev_b32 v2, 3, v2
	v_mul_u32_u24_e32 v4, 3, v58
	scratch_store_b32 off, v2, off offset:460 ; 4-byte Folded Spill
	ds_store_2addr_b64 v2, v[18:19], v[0:1] offset1:1
	ds_store_b64 v2, v[6:7] offset:16
	v_fma_f32 v0, -0.5, v50, v8
	v_fma_f32 v1, -0.5, v54, v9
	v_lshlrev_b32_e32 v4, 3, v4
	v_add_co_u32 v50, null, 0x2d0, v89
	s_delay_alu instid0(VALU_DEP_4) | instskip(NEXT) | instid1(VALU_DEP_4)
	v_fmamk_f32 v2, v44, 0x3f5db3d7, v0
	v_dual_fmamk_f32 v3, v47, 0xbf5db3d7, v1 :: v_dual_fmac_f32 v0, 0xbf5db3d7, v44
	v_fmac_f32_e32 v1, 0x3f5db3d7, v47
	scratch_store_b32 off, v4, off offset:456 ; 4-byte Folded Spill
	ds_store_2addr_b64 v4, v[26:27], v[2:3] offset1:1
	ds_store_b64 v4, v[0:1] offset:16
	v_mul_u32_u24_e32 v2, 3, v59
	v_fmamk_f32 v0, v34, 0x3f5db3d7, v10
	v_dual_fmamk_f32 v1, v36, 0xbf5db3d7, v11 :: v_dual_fmac_f32 v10, 0xbf5db3d7, v34
	s_delay_alu instid0(VALU_DEP_3)
	v_dual_fmac_f32 v11, 0x3f5db3d7, v36 :: v_dual_lshlrev_b32 v2, 3, v2
	v_mul_u32_u24_e32 v4, 3, v50
	scratch_store_b32 off, v2, off offset:452 ; 4-byte Folded Spill
	ds_store_2addr_b64 v2, v[20:21], v[0:1] offset1:1
	ds_store_b64 v2, v[10:11] offset:16
	v_fma_f32 v0, -0.5, v56, v12
	v_fma_f32 v1, -0.5, v57, v13
	v_lshlrev_b32_e32 v4, 3, v4
	s_delay_alu instid0(VALU_DEP_3) | instskip(NEXT) | instid1(VALU_DEP_3)
	v_fmamk_f32 v2, v53, 0x3f5db3d7, v0
	v_dual_fmamk_f32 v3, v55, 0xbf5db3d7, v1 :: v_dual_fmac_f32 v0, 0xbf5db3d7, v53
	v_fmac_f32_e32 v1, 0x3f5db3d7, v55
	scratch_store_b32 off, v4, off offset:448 ; 4-byte Folded Spill
	ds_store_2addr_b64 v4, v[28:29], v[2:3] offset1:1
	ds_store_b64 v4, v[0:1] offset:16
	v_mul_u32_u24_e32 v2, 3, v51
	v_fmamk_f32 v0, v39, 0x3f5db3d7, v14
	v_dual_fmamk_f32 v1, v42, 0xbf5db3d7, v15 :: v_dual_fmac_f32 v14, 0xbf5db3d7, v39
	v_fmac_f32_e32 v15, 0x3f5db3d7, v42
	s_delay_alu instid0(VALU_DEP_4)
	v_lshlrev_b32_e32 v2, 3, v2
	scratch_store_b32 off, v2, off offset:444 ; 4-byte Folded Spill
	ds_store_2addr_b64 v2, v[22:23], v[0:1] offset1:1
	ds_store_b64 v2, v[14:15] offset:16
	v_and_b32_e32 v0, 0xff, v48
	s_waitcnt lgkmcnt(0)
	s_waitcnt_vscnt null, 0x0
	s_barrier
	buffer_gl0_inv
	v_mul_lo_u16 v1, 0xab, v0
	s_delay_alu instid0(VALU_DEP_1) | instskip(SKIP_1) | instid1(VALU_DEP_1)
	v_lshrrev_b16 v11, 9, v1
	v_and_b32_e32 v1, 0xff, v31
	v_mul_lo_u16 v2, 0xab, v1
	v_mul_lo_u16 v1, 0x89, v1
	s_delay_alu instid0(VALU_DEP_2) | instskip(SKIP_1) | instid1(VALU_DEP_2)
	v_lshrrev_b16 v15, 9, v2
	v_mul_lo_u16 v2, v11, 3
	v_mul_lo_u16 v3, v15, 3
	s_delay_alu instid0(VALU_DEP_2) | instskip(NEXT) | instid1(VALU_DEP_2)
	v_sub_nc_u16 v2, v48, v2
	v_sub_nc_u16 v3, v31, v3
	s_delay_alu instid0(VALU_DEP_2) | instskip(NEXT) | instid1(VALU_DEP_2)
	v_and_b32_e32 v12, 0xff, v2
	v_and_b32_e32 v16, 0xff, v3
	s_delay_alu instid0(VALU_DEP_2)
	v_mad_u64_u32 v[6:7], null, 0x48, v12, s[10:11]
	ds_load_2addr_b64 v[2:5], v187 offset0:28 offset1:118
	s_clause 0x1
	global_load_b128 v[128:131], v[6:7], off
	global_load_b128 v[136:139], v[6:7], off offset:16
	s_waitcnt vmcnt(1) lgkmcnt(0)
	v_mul_f32_e32 v8, v3, v131
	v_mul_f32_e32 v18, v2, v131
	s_delay_alu instid0(VALU_DEP_2)
	v_fma_f32 v17, v2, v130, -v8
	v_mad_u64_u32 v[8:9], null, 0x48, v16, s[10:11]
	s_clause 0x1
	global_load_b64 v[245:246], v[6:7], off offset:64
	global_load_b128 v[132:135], v[8:9], off
	v_fmac_f32_e32 v18, v3, v130
	s_waitcnt vmcnt(0)
	v_mul_f32_e32 v2, v5, v135
	v_mul_f32_e32 v20, v4, v135
	s_delay_alu instid0(VALU_DEP_2) | instskip(NEXT) | instid1(VALU_DEP_2)
	v_fma_f32 v19, v4, v134, -v2
	v_fmac_f32_e32 v20, v5, v134
	ds_load_2addr_b64 v[2:5], v243 offset0:56 offset1:146
	s_clause 0x3
	global_load_b128 v[140:143], v[8:9], off offset:16
	global_load_b128 v[152:155], v[8:9], off offset:32
	;; [unrolled: 1-line block ×4, first 2 shown]
	s_waitcnt lgkmcnt(0)
	v_mul_f32_e32 v10, v3, v139
	v_mul_f32_e32 v22, v2, v139
	s_delay_alu instid0(VALU_DEP_2) | instskip(NEXT) | instid1(VALU_DEP_2)
	v_fma_f32 v21, v2, v138, -v10
	v_fmac_f32_e32 v22, v3, v138
	s_waitcnt vmcnt(3)
	v_mul_f32_e32 v2, v5, v143
	v_mul_f32_e32 v24, v4, v143
	s_delay_alu instid0(VALU_DEP_2) | instskip(NEXT) | instid1(VALU_DEP_2)
	v_fma_f32 v23, v4, v142, -v2
	v_fmac_f32_e32 v24, v5, v142
	ds_load_2addr_b64 v[2:5], v189 offset0:84 offset1:174
	s_waitcnt vmcnt(1) lgkmcnt(0)
	v_mul_f32_e32 v6, v3, v147
	v_mul_f32_e32 v26, v2, v147
	;; [unrolled: 1-line block ×3, first 2 shown]
	s_delay_alu instid0(VALU_DEP_3) | instskip(SKIP_1) | instid1(VALU_DEP_4)
	v_fma_f32 v25, v2, v146, -v6
	v_mul_f32_e32 v2, v5, v155
	v_fmac_f32_e32 v26, v3, v146
	s_delay_alu instid0(VALU_DEP_4) | instskip(NEXT) | instid1(VALU_DEP_4)
	v_fmac_f32_e32 v28, v5, v154
	v_sub_f32_e32 v101, v21, v25
	s_delay_alu instid0(VALU_DEP_4)
	v_fma_f32 v27, v4, v154, -v2
	ds_load_2addr_b64 v[2:5], v232 offset0:112 offset1:202
	s_clause 0x1
	global_load_b64 v[247:248], v[8:9], off offset:64
	global_load_b128 v[164:167], v[8:9], off offset:48
	v_dual_add_f32 v95, v22, v26 :: v_dual_add_f32 v94, v21, v25
	s_waitcnt vmcnt(2) lgkmcnt(0)
	v_mul_f32_e32 v6, v3, v159
	v_mul_f32_e32 v32, v2, v159
	s_delay_alu instid0(VALU_DEP_2) | instskip(NEXT) | instid1(VALU_DEP_2)
	v_fma_f32 v29, v2, v158, -v6
	v_fmac_f32_e32 v32, v3, v158
	s_delay_alu instid0(VALU_DEP_1) | instskip(SKIP_3) | instid1(VALU_DEP_2)
	v_dual_sub_f32 v100, v17, v29 :: v_dual_sub_f32 v97, v18, v32
	s_waitcnt vmcnt(0)
	v_mul_f32_e32 v2, v5, v167
	v_mul_f32_e32 v34, v4, v167
	v_fma_f32 v33, v4, v166, -v2
	v_and_b32_e32 v2, 0xffff, v30
	s_delay_alu instid0(VALU_DEP_3) | instskip(SKIP_1) | instid1(VALU_DEP_3)
	v_fmac_f32_e32 v34, v5, v166
	v_sub_f32_e32 v98, v22, v26
	v_mul_u32_u24_e32 v3, 0xaaab, v2
	s_delay_alu instid0(VALU_DEP_1) | instskip(NEXT) | instid1(VALU_DEP_1)
	v_lshrrev_b32_e32 v35, 17, v3
	v_mul_lo_u16 v3, v35, 3
	s_delay_alu instid0(VALU_DEP_1) | instskip(NEXT) | instid1(VALU_DEP_1)
	v_sub_nc_u16 v36, v30, v3
	v_mul_lo_u16 v3, 0x48, v36
	s_delay_alu instid0(VALU_DEP_1) | instskip(NEXT) | instid1(VALU_DEP_1)
	v_and_b32_e32 v3, 0xffff, v3
	v_add_co_u32 v9, s2, s10, v3
	s_delay_alu instid0(VALU_DEP_1)
	v_add_co_ci_u32_e64 v10, null, s11, 0, s2
	ds_load_2addr_b64 v[3:6], v233 offset0:104 offset1:194
	s_clause 0x1
	global_load_b128 v[148:151], v[9:10], off
	global_load_b128 v[160:163], v[9:10], off offset:16
	s_waitcnt lgkmcnt(0)
	v_mul_f32_e32 v7, v4, v133
	v_mul_f32_e32 v38, v3, v133
	s_delay_alu instid0(VALU_DEP_2) | instskip(SKIP_1) | instid1(VALU_DEP_2)
	v_fma_f32 v37, v3, v132, -v7
	s_waitcnt vmcnt(1)
	v_dual_fmac_f32 v38, v4, v132 :: v_dual_mul_f32 v3, v6, v149
	v_mul_f32_e32 v4, v5, v149
	s_delay_alu instid0(VALU_DEP_2) | instskip(NEXT) | instid1(VALU_DEP_2)
	v_fma_f32 v3, v5, v148, -v3
	v_fmac_f32_e32 v4, v6, v148
	ds_load_2addr_b64 v[5:8], v208 offset0:80 offset1:170
	s_waitcnt lgkmcnt(0)
	v_mul_f32_e32 v13, v8, v137
	v_mul_f32_e32 v40, v7, v137
	;; [unrolled: 1-line block ×3, first 2 shown]
	s_delay_alu instid0(VALU_DEP_3) | instskip(NEXT) | instid1(VALU_DEP_3)
	v_fma_f32 v39, v7, v136, -v13
	v_dual_mul_f32 v7, v6, v151 :: v_dual_fmac_f32 v40, v8, v136
	s_delay_alu instid0(VALU_DEP_3) | instskip(NEXT) | instid1(VALU_DEP_2)
	v_fmac_f32_e32 v42, v6, v150
	v_fma_f32 v41, v5, v150, -v7
	ds_load_2addr_b64 v[5:8], v235 offset0:132 offset1:222
	s_waitcnt lgkmcnt(0)
	v_mul_f32_e32 v13, v6, v141
	v_mul_f32_e32 v44, v5, v141
	s_waitcnt vmcnt(0)
	v_mul_f32_e32 v46, v7, v161
	s_delay_alu instid0(VALU_DEP_3) | instskip(NEXT) | instid1(VALU_DEP_3)
	v_fma_f32 v43, v5, v140, -v13
	v_dual_mul_f32 v5, v8, v161 :: v_dual_fmac_f32 v44, v6, v140
	s_delay_alu instid0(VALU_DEP_3) | instskip(NEXT) | instid1(VALU_DEP_2)
	v_fmac_f32_e32 v46, v8, v160
	v_fma_f32 v45, v7, v160, -v5
	ds_load_2addr_b64 v[5:8], v207 offset0:108 offset1:198
	s_waitcnt lgkmcnt(0)
	v_mul_f32_e32 v13, v8, v145
	v_mul_f32_e32 v52, v7, v145
	v_mul_f32_e32 v54, v5, v163
	s_delay_alu instid0(VALU_DEP_3) | instskip(NEXT) | instid1(VALU_DEP_3)
	v_fma_f32 v47, v7, v144, -v13
	v_dual_mul_f32 v7, v6, v163 :: v_dual_fmac_f32 v52, v8, v144
	s_delay_alu instid0(VALU_DEP_3) | instskip(NEXT) | instid1(VALU_DEP_2)
	v_fmac_f32_e32 v54, v6, v162
	v_fma_f32 v53, v5, v162, -v7
	ds_load_2addr_b64 v[5:8], v222 offset0:160 offset1:250
	s_clause 0x2
	global_load_b128 v[168:171], v[9:10], off offset:32
	global_load_b128 v[172:175], v[9:10], off offset:48
	global_load_b64 v[249:250], v[9:10], off offset:64
	s_waitcnt lgkmcnt(0)
	v_mul_f32_e32 v13, v6, v153
	v_mul_f32_e32 v56, v5, v153
	s_delay_alu instid0(VALU_DEP_2) | instskip(SKIP_1) | instid1(VALU_DEP_2)
	v_fma_f32 v55, v5, v152, -v13
	s_waitcnt vmcnt(2)
	v_dual_fmac_f32 v56, v6, v152 :: v_dual_mul_f32 v5, v8, v169
	v_mul_f32_e32 v63, v7, v169
	s_delay_alu instid0(VALU_DEP_2) | instskip(NEXT) | instid1(VALU_DEP_2)
	v_fma_f32 v57, v7, v168, -v5
	v_fmac_f32_e32 v63, v8, v168
	ds_load_2addr_b64 v[5:8], v236 offset0:8 offset1:98
	s_waitcnt lgkmcnt(0)
	v_mul_f32_e32 v13, v8, v157
	v_mul_f32_e32 v65, v7, v157
	;; [unrolled: 1-line block ×3, first 2 shown]
	s_delay_alu instid0(VALU_DEP_3) | instskip(SKIP_1) | instid1(VALU_DEP_4)
	v_fma_f32 v64, v7, v156, -v13
	v_mul_f32_e32 v7, v6, v171
	v_fmac_f32_e32 v65, v8, v156
	s_delay_alu instid0(VALU_DEP_4) | instskip(NEXT) | instid1(VALU_DEP_4)
	v_fmac_f32_e32 v67, v6, v170
	v_sub_f32_e32 v89, v47, v64
	s_delay_alu instid0(VALU_DEP_4)
	v_fma_f32 v66, v5, v170, -v7
	ds_load_2addr_b64 v[5:8], v234 offset0:60 offset1:150
	v_sub_f32_e32 v91, v52, v65
	s_waitcnt lgkmcnt(0)
	v_mul_f32_e32 v13, v6, v165
	v_mul_f32_e32 v69, v5, v165
	s_waitcnt vmcnt(1)
	v_mul_f32_e32 v71, v7, v173
	s_delay_alu instid0(VALU_DEP_3) | instskip(SKIP_2) | instid1(VALU_DEP_4)
	v_fma_f32 v68, v5, v164, -v13
	v_mul_f32_e32 v5, v8, v173
	v_fmac_f32_e32 v69, v6, v164
	v_fmac_f32_e32 v71, v8, v172
	s_delay_alu instid0(VALU_DEP_3)
	v_fma_f32 v70, v7, v172, -v5
	ds_load_2addr_b64 v[5:8], v224 offset0:36 offset1:126
	s_waitcnt lgkmcnt(0)
	v_mul_f32_e32 v13, v8, v246
	v_mul_f32_e32 v73, v7, v246
	;; [unrolled: 1-line block ×3, first 2 shown]
	s_delay_alu instid0(VALU_DEP_3) | instskip(SKIP_1) | instid1(VALU_DEP_4)
	v_fma_f32 v72, v7, v245, -v13
	v_mul_f32_e32 v7, v6, v175
	v_fmac_f32_e32 v73, v8, v245
	s_delay_alu instid0(VALU_DEP_3) | instskip(NEXT) | instid1(VALU_DEP_3)
	v_dual_fmac_f32 v75, v6, v174 :: v_dual_sub_f32 v88, v39, v72
	v_fma_f32 v74, v5, v174, -v7
	ds_load_2addr_b64 v[5:8], v185 offset0:88 offset1:178
	s_waitcnt lgkmcnt(0)
	v_dual_sub_f32 v90, v40, v73 :: v_dual_mul_f32 v9, v6, v248
	v_mul_f32_e32 v77, v5, v248
	s_waitcnt vmcnt(0)
	v_mul_f32_e32 v79, v7, v250
	s_delay_alu instid0(VALU_DEP_3) | instskip(SKIP_2) | instid1(VALU_DEP_4)
	v_fma_f32 v76, v5, v247, -v9
	v_mul_f32_e32 v5, v8, v250
	v_dual_fmac_f32 v77, v6, v247 :: v_dual_sub_f32 v6, v29, v25
	v_fmac_f32_e32 v79, v8, v249
	s_delay_alu instid0(VALU_DEP_3) | instskip(SKIP_1) | instid1(VALU_DEP_1)
	v_fma_f32 v78, v7, v249, -v5
	v_and_b32_e32 v5, 0xffff, v11
	v_mul_u32_u24_e32 v5, 30, v5
	s_delay_alu instid0(VALU_DEP_1) | instskip(SKIP_1) | instid1(VALU_DEP_1)
	v_add_lshl_u32 v106, v5, v12, 3
	v_sub_f32_e32 v5, v17, v21
	v_add_f32_e32 v80, v5, v6
	v_sub_f32_e32 v5, v18, v22
	v_sub_f32_e32 v6, v32, v26
	s_delay_alu instid0(VALU_DEP_1) | instskip(SKIP_1) | instid1(VALU_DEP_1)
	v_add_f32_e32 v81, v5, v6
	v_dual_sub_f32 v5, v39, v47 :: v_dual_sub_f32 v6, v72, v64
	v_dual_add_f32 v82, v5, v6 :: v_dual_sub_f32 v5, v40, v52
	v_sub_f32_e32 v6, v73, v65
	s_delay_alu instid0(VALU_DEP_1) | instskip(SKIP_4) | instid1(VALU_DEP_2)
	v_add_f32_e32 v83, v5, v6
	ds_load_2addr_b64 v[5:8], v244 offset0:52 offset1:142
	s_waitcnt lgkmcnt(0)
	v_mul_f32_e32 v9, v8, v129
	v_mul_f32_e32 v85, v7, v129
	v_fma_f32 v84, v7, v128, -v9
	v_add_f32_e32 v7, v47, v64
	s_delay_alu instid0(VALU_DEP_3) | instskip(NEXT) | instid1(VALU_DEP_3)
	v_fmac_f32_e32 v85, v8, v128
	v_add_f32_e32 v14, v84, v39
	s_delay_alu instid0(VALU_DEP_3) | instskip(NEXT) | instid1(VALU_DEP_2)
	v_fma_f32 v86, -0.5, v7, v84
	v_dual_add_f32 v7, v52, v65 :: v_dual_add_f32 v14, v14, v47
	s_delay_alu instid0(VALU_DEP_1) | instskip(NEXT) | instid1(VALU_DEP_1)
	v_fma_f32 v87, -0.5, v7, v85
	v_dual_add_f32 v14, v14, v64 :: v_dual_fmamk_f32 v7, v88, 0xbf737871, v87
	v_fmac_f32_e32 v87, 0x3f737871, v88
	s_delay_alu instid0(VALU_DEP_2) | instskip(NEXT) | instid1(VALU_DEP_2)
	v_dual_add_f32 v104, v14, v72 :: v_dual_fmac_f32 v7, 0xbf167918, v89
	v_fmac_f32_e32 v87, 0x3f167918, v89
	v_fmamk_f32 v8, v90, 0x3f737871, v86
	v_fmac_f32_e32 v86, 0xbf737871, v90
	s_delay_alu instid0(VALU_DEP_4) | instskip(NEXT) | instid1(VALU_DEP_4)
	v_fmac_f32_e32 v7, 0x3e9e377a, v83
	v_fmac_f32_e32 v87, 0x3e9e377a, v83
	s_delay_alu instid0(VALU_DEP_4) | instskip(NEXT) | instid1(VALU_DEP_4)
	v_fmac_f32_e32 v8, 0x3f167918, v91
	v_fmac_f32_e32 v86, 0xbf167918, v91
	s_delay_alu instid0(VALU_DEP_4) | instskip(NEXT) | instid1(VALU_DEP_3)
	v_mul_f32_e32 v92, 0x3f167918, v7
	v_fmac_f32_e32 v8, 0x3e9e377a, v82
	s_delay_alu instid0(VALU_DEP_3) | instskip(NEXT) | instid1(VALU_DEP_2)
	v_fmac_f32_e32 v86, 0x3e9e377a, v82
	v_mul_f32_e32 v93, 0xbf167918, v8
	s_delay_alu instid0(VALU_DEP_1)
	v_dual_fmac_f32 v92, 0x3f4f1bbd, v8 :: v_dual_fmac_f32 v93, 0x3f4f1bbd, v7
	ds_load_2addr_b64 v[7:10], v179 offset1:90
	s_waitcnt lgkmcnt(0)
	s_barrier
	buffer_gl0_inv
	v_fma_f32 v95, -0.5, v95, v8
	v_dual_add_f32 v11, v7, v17 :: v_dual_add_f32 v12, v8, v18
	v_fma_f32 v94, -0.5, v94, v7
	s_delay_alu instid0(VALU_DEP_3) | instskip(SKIP_1) | instid1(VALU_DEP_4)
	v_fmamk_f32 v102, v100, 0xbf737871, v95
	v_fmac_f32_e32 v95, 0x3f737871, v100
	v_dual_add_f32 v11, v11, v21 :: v_dual_add_f32 v12, v12, v22
	s_delay_alu instid0(VALU_DEP_4) | instskip(NEXT) | instid1(VALU_DEP_4)
	v_fmamk_f32 v99, v97, 0x3f737871, v94
	v_fmac_f32_e32 v102, 0xbf167918, v101
	s_delay_alu instid0(VALU_DEP_4) | instskip(SKIP_3) | instid1(VALU_DEP_3)
	v_fmac_f32_e32 v95, 0x3f167918, v101
	v_add_f32_e32 v13, v85, v40
	v_dual_add_f32 v11, v11, v25 :: v_dual_add_f32 v12, v12, v26
	v_fmac_f32_e32 v99, 0x3f167918, v98
	v_dual_fmac_f32 v102, 0x3e9e377a, v81 :: v_dual_add_f32 v13, v13, v52
	s_delay_alu instid0(VALU_DEP_3) | instskip(NEXT) | instid1(VALU_DEP_3)
	v_dual_add_f32 v96, v11, v29 :: v_dual_add_f32 v103, v12, v32
	v_fmac_f32_e32 v99, 0x3e9e377a, v80
	v_fmac_f32_e32 v94, 0xbf737871, v97
	s_delay_alu instid0(VALU_DEP_4) | instskip(NEXT) | instid1(VALU_DEP_4)
	v_add_f32_e32 v13, v13, v65
	v_dual_add_f32 v11, v96, v104 :: v_dual_add_f32 v14, v102, v93
	v_fmac_f32_e32 v95, 0x3e9e377a, v81
	s_delay_alu instid0(VALU_DEP_3) | instskip(SKIP_1) | instid1(VALU_DEP_2)
	v_dual_fmac_f32 v94, 0xbf167918, v98 :: v_dual_add_f32 v105, v13, v73
	v_add_f32_e32 v13, v99, v92
	v_fmac_f32_e32 v94, 0x3e9e377a, v80
	s_delay_alu instid0(VALU_DEP_3)
	v_add_f32_e32 v12, v103, v105
	v_sub_f32_e32 v80, v23, v27
	ds_store_2addr_b64 v106, v[11:12], v[13:14] offset1:3
	v_add_f32_e32 v12, v17, v29
	v_sub_f32_e32 v13, v25, v29
	v_add_f32_e32 v29, v40, v73
	v_dual_sub_f32 v11, v21, v17 :: v_dual_sub_f32 v14, v47, v39
	v_add_f32_e32 v17, v39, v72
	v_sub_f32_e32 v21, v64, v72
	v_sub_f32_e32 v25, v52, v40
	v_sub_f32_e32 v39, v65, v73
	v_dual_fmac_f32 v85, -0.5, v29 :: v_dual_sub_f32 v22, v22, v18
	v_add_f32_e32 v18, v18, v32
	v_fmac_f32_e32 v84, -0.5, v17
	s_delay_alu instid0(VALU_DEP_4) | instskip(SKIP_1) | instid1(VALU_DEP_4)
	v_dual_add_f32 v14, v14, v21 :: v_dual_add_f32 v17, v25, v39
	v_fma_f32 v21, -0.5, v12, v7
	v_fma_f32 v18, -0.5, v18, v8
	v_fmamk_f32 v8, v89, 0x3f737871, v85
	v_dual_fmac_f32 v85, 0xbf737871, v89 :: v_dual_sub_f32 v26, v26, v32
	v_add_f32_e32 v11, v11, v13
	s_delay_alu instid0(VALU_DEP_4) | instskip(SKIP_1) | instid1(VALU_DEP_4)
	v_fmamk_f32 v25, v101, 0x3f737871, v18
	v_fmac_f32_e32 v18, 0xbf737871, v101
	v_dual_fmac_f32 v8, 0xbf167918, v88 :: v_dual_add_f32 v13, v22, v26
	v_fmamk_f32 v22, v98, 0xbf737871, v21
	v_fmac_f32_e32 v21, 0x3f737871, v98
	v_fmac_f32_e32 v25, 0xbf167918, v100
	v_fmamk_f32 v7, v91, 0xbf737871, v84
	v_fmac_f32_e32 v8, 0x3e9e377a, v17
	v_fmac_f32_e32 v85, 0x3f167918, v88
	;; [unrolled: 1-line block ×4, first 2 shown]
	v_dual_fmac_f32 v7, 0x3f167918, v90 :: v_dual_fmac_f32 v22, 0x3f167918, v97
	s_delay_alu instid0(VALU_DEP_4) | instskip(NEXT) | instid1(VALU_DEP_4)
	v_fmac_f32_e32 v85, 0x3e9e377a, v17
	v_fmac_f32_e32 v21, 0x3e9e377a, v11
	;; [unrolled: 1-line block ×3, first 2 shown]
	v_sub_f32_e32 v64, v24, v28
	v_fmac_f32_e32 v84, 0x3f737871, v91
	v_fmac_f32_e32 v7, 0x3e9e377a, v14
	v_mul_f32_e32 v26, 0xbe9e377a, v85
	v_fmac_f32_e32 v18, 0x3e9e377a, v13
	v_dual_mul_f32 v13, 0x3f737871, v8 :: v_dual_sub_f32 v52, v20, v34
	v_fmac_f32_e32 v84, 0xbf167918, v90
	v_fmac_f32_e32 v22, 0x3e9e377a, v11
	v_mul_f32_e32 v29, 0xbf4f1bbd, v86
	s_delay_alu instid0(VALU_DEP_4) | instskip(SKIP_4) | instid1(VALU_DEP_4)
	v_fmac_f32_e32 v13, 0x3e9e377a, v7
	v_mul_f32_e32 v32, 0xbf4f1bbd, v87
	v_fmac_f32_e32 v84, 0x3e9e377a, v14
	v_mul_f32_e32 v14, 0xbf737871, v7
	v_fmac_f32_e32 v29, 0x3f167918, v87
	v_dual_add_f32 v7, v22, v13 :: v_dual_fmac_f32 v32, 0xbf167918, v86
	s_delay_alu instid0(VALU_DEP_4) | instskip(NEXT) | instid1(VALU_DEP_4)
	v_mul_f32_e32 v17, 0xbe9e377a, v84
	v_fmac_f32_e32 v14, 0x3e9e377a, v8
	v_fmac_f32_e32 v26, 0xbf737871, v84
	v_sub_f32_e32 v72, v19, v33
	v_mul_lo_u16 v0, 0x89, v0
	s_delay_alu instid0(VALU_DEP_4) | instskip(NEXT) | instid1(VALU_DEP_1)
	v_dual_fmac_f32 v17, 0x3f737871, v85 :: v_dual_add_f32 v8, v25, v14
	v_dual_add_f32 v12, v18, v26 :: v_dual_add_f32 v11, v21, v17
	ds_store_2addr_b64 v106, v[7:8], v[11:12] offset0:6 offset1:9
	v_dual_sub_f32 v7, v96, v104 :: v_dual_sub_f32 v8, v103, v105
	v_dual_add_f32 v11, v94, v29 :: v_dual_add_f32 v12, v95, v32
	ds_store_2addr_b64 v106, v[11:12], v[7:8] offset0:12 offset1:15
	v_dual_sub_f32 v7, v99, v92 :: v_dual_sub_f32 v8, v102, v93
	v_dual_sub_f32 v11, v22, v13 :: v_dual_sub_f32 v12, v25, v14
	v_sub_f32_e32 v25, v43, v76
	ds_store_2addr_b64 v106, v[7:8], v[11:12] offset0:18 offset1:21
	v_sub_f32_e32 v7, v21, v17
	v_dual_sub_f32 v11, v94, v29 :: v_dual_sub_f32 v12, v95, v32
	v_dual_sub_f32 v29, v44, v77 :: v_dual_sub_f32 v8, v18, v26
	v_sub_f32_e32 v26, v55, v68
	ds_store_2addr_b64 v106, v[7:8], v[11:12] offset0:24 offset1:27
	v_sub_f32_e32 v7, v19, v23
	v_dual_sub_f32 v8, v33, v27 :: v_dual_add_f32 v11, v24, v28
	s_delay_alu instid0(VALU_DEP_1) | instskip(SKIP_2) | instid1(VALU_DEP_1)
	v_add_f32_e32 v13, v7, v8
	v_sub_f32_e32 v7, v20, v24
	v_sub_f32_e32 v8, v34, v28
	v_add_f32_e32 v14, v7, v8
	v_dual_sub_f32 v7, v43, v55 :: v_dual_sub_f32 v8, v76, v68
	s_delay_alu instid0(VALU_DEP_1) | instskip(SKIP_1) | instid1(VALU_DEP_1)
	v_dual_sub_f32 v32, v56, v69 :: v_dual_add_f32 v17, v7, v8
	v_dual_sub_f32 v7, v44, v56 :: v_dual_sub_f32 v8, v77, v69
	v_add_f32_e32 v18, v7, v8
	v_add_f32_e32 v7, v55, v68
	s_delay_alu instid0(VALU_DEP_1) | instskip(NEXT) | instid1(VALU_DEP_1)
	v_fma_f32 v21, -0.5, v7, v37
	v_dual_add_f32 v7, v56, v69 :: v_dual_fmamk_f32 v8, v29, 0x3f737871, v21
	s_delay_alu instid0(VALU_DEP_1) | instskip(SKIP_1) | instid1(VALU_DEP_3)
	v_fma_f32 v22, -0.5, v7, v38
	v_fmac_f32_e32 v21, 0xbf737871, v29
	v_fmac_f32_e32 v8, 0x3f167918, v32
	s_delay_alu instid0(VALU_DEP_3) | instskip(SKIP_1) | instid1(VALU_DEP_4)
	v_fmamk_f32 v7, v25, 0xbf737871, v22
	v_fmac_f32_e32 v22, 0x3f737871, v25
	v_fmac_f32_e32 v21, 0xbf167918, v32
	s_delay_alu instid0(VALU_DEP_4) | instskip(NEXT) | instid1(VALU_DEP_4)
	v_fmac_f32_e32 v8, 0x3e9e377a, v17
	v_fmac_f32_e32 v7, 0xbf167918, v26
	s_delay_alu instid0(VALU_DEP_4) | instskip(NEXT) | instid1(VALU_DEP_4)
	v_fmac_f32_e32 v22, 0x3f167918, v26
	v_fmac_f32_e32 v21, 0x3e9e377a, v17
	s_delay_alu instid0(VALU_DEP_4) | instskip(NEXT) | instid1(VALU_DEP_4)
	v_dual_sub_f32 v17, v45, v78 :: v_dual_mul_f32 v40, 0xbf167918, v8
	v_fmac_f32_e32 v7, 0x3e9e377a, v18
	s_delay_alu instid0(VALU_DEP_4) | instskip(NEXT) | instid1(VALU_DEP_2)
	v_fmac_f32_e32 v22, 0x3e9e377a, v18
	v_dual_sub_f32 v18, v57, v70 :: v_dual_mul_f32 v39, 0x3f167918, v7
	s_delay_alu instid0(VALU_DEP_4) | instskip(SKIP_1) | instid1(VALU_DEP_3)
	v_fmac_f32_e32 v40, 0x3f4f1bbd, v7
	v_and_b32_e32 v7, 0xffff, v15
	v_dual_fmac_f32 v39, 0x3f4f1bbd, v8 :: v_dual_add_f32 v8, v23, v27
	s_delay_alu instid0(VALU_DEP_2) | instskip(NEXT) | instid1(VALU_DEP_2)
	v_mul_u32_u24_e32 v7, 30, v7
	v_fma_f32 v15, -0.5, v8, v9
	s_delay_alu instid0(VALU_DEP_2) | instskip(SKIP_4) | instid1(VALU_DEP_4)
	v_add_lshl_u32 v84, v7, v16, 3
	v_dual_add_f32 v7, v9, v19 :: v_dual_add_f32 v8, v10, v20
	v_fma_f32 v16, -0.5, v11, v10
	v_add_f32_e32 v11, v38, v44
	v_fmamk_f32 v65, v52, 0x3f737871, v15
	v_add_f32_e32 v7, v7, v23
	v_fmac_f32_e32 v15, 0xbf737871, v52
	v_add_f32_e32 v8, v8, v24
	v_add_f32_e32 v11, v11, v56
	v_fmac_f32_e32 v65, 0x3f167918, v64
	v_add_f32_e32 v7, v7, v27
	v_fmamk_f32 v73, v72, 0xbf737871, v16
	v_fmac_f32_e32 v15, 0xbf167918, v64
	v_dual_add_f32 v8, v8, v28 :: v_dual_add_f32 v11, v11, v69
	s_delay_alu instid0(VALU_DEP_4)
	v_add_f32_e32 v47, v7, v33
	v_add_f32_e32 v7, v37, v43
	v_fmac_f32_e32 v73, 0xbf167918, v80
	v_fmac_f32_e32 v65, 0x3e9e377a, v13
	;; [unrolled: 1-line block ×3, first 2 shown]
	v_mul_f32_e32 v13, 0xbf4f1bbd, v21
	v_add_f32_e32 v7, v7, v55
	v_add_f32_e32 v81, v8, v34
	;; [unrolled: 1-line block ×4, first 2 shown]
	v_fmac_f32_e32 v13, 0x3f167918, v22
	v_add_f32_e32 v7, v7, v68
	s_delay_alu instid0(VALU_DEP_4) | instskip(SKIP_1) | instid1(VALU_DEP_3)
	v_dual_fmac_f32 v73, 0x3e9e377a, v14 :: v_dual_add_f32 v8, v81, v83
	v_fmac_f32_e32 v16, 0x3f737871, v72
	v_add_f32_e32 v82, v7, v76
	s_delay_alu instid0(VALU_DEP_3) | instskip(NEXT) | instid1(VALU_DEP_2)
	v_add_f32_e32 v12, v73, v40
	v_dual_fmac_f32 v16, 0x3f167918, v80 :: v_dual_add_f32 v7, v47, v82
	s_delay_alu instid0(VALU_DEP_1)
	v_fmac_f32_e32 v16, 0x3e9e377a, v14
	v_mul_f32_e32 v14, 0xbf4f1bbd, v22
	ds_store_2addr_b64 v84, v[7:8], v[11:12] offset1:3
	v_add_f32_e32 v11, v19, v33
	v_sub_f32_e32 v7, v23, v19
	v_sub_f32_e32 v8, v27, v33
	v_add_f32_e32 v12, v20, v34
	v_sub_f32_e32 v19, v28, v34
	v_fma_f32 v9, -0.5, v11, v9
	v_add_f32_e32 v11, v43, v76
	v_add_f32_e32 v7, v7, v8
	v_sub_f32_e32 v8, v24, v20
	v_fmac_f32_e32 v10, -0.5, v12
	v_fmamk_f32 v20, v64, 0xbf737871, v9
	v_fmac_f32_e32 v9, 0x3f737871, v64
	v_dual_sub_f32 v12, v68, v76 :: v_dual_fmac_f32 v37, -0.5, v11
	s_delay_alu instid0(VALU_DEP_3) | instskip(NEXT) | instid1(VALU_DEP_3)
	v_dual_sub_f32 v33, v53, v66 :: v_dual_fmac_f32 v20, 0x3f167918, v52
	v_fmac_f32_e32 v9, 0xbf167918, v52
	v_sub_f32_e32 v11, v69, v77
	v_fmac_f32_e32 v14, 0xbf167918, v21
	s_delay_alu instid0(VALU_DEP_4) | instskip(NEXT) | instid1(VALU_DEP_4)
	v_fmac_f32_e32 v20, 0x3e9e377a, v7
	v_fmac_f32_e32 v9, 0x3e9e377a, v7
	v_add_f32_e32 v7, v8, v19
	v_fmamk_f32 v19, v80, 0x3f737871, v10
	v_fmac_f32_e32 v10, 0xbf737871, v80
	s_delay_alu instid0(VALU_DEP_2) | instskip(NEXT) | instid1(VALU_DEP_2)
	v_dual_sub_f32 v8, v55, v43 :: v_dual_fmac_f32 v19, 0xbf167918, v72
	v_fmac_f32_e32 v10, 0x3f167918, v72
	s_delay_alu instid0(VALU_DEP_2) | instskip(NEXT) | instid1(VALU_DEP_2)
	v_fmac_f32_e32 v19, 0x3e9e377a, v7
	v_dual_fmac_f32 v10, 0x3e9e377a, v7 :: v_dual_add_f32 v7, v8, v12
	v_add_f32_e32 v8, v44, v77
	v_fmamk_f32 v12, v32, 0xbf737871, v37
	v_fmac_f32_e32 v37, 0x3f737871, v32
	s_delay_alu instid0(VALU_DEP_3) | instskip(SKIP_1) | instid1(VALU_DEP_4)
	v_fmac_f32_e32 v38, -0.5, v8
	v_sub_f32_e32 v8, v56, v44
	v_fmac_f32_e32 v12, 0x3f167918, v29
	s_delay_alu instid0(VALU_DEP_4) | instskip(NEXT) | instid1(VALU_DEP_2)
	v_fmac_f32_e32 v37, 0xbf167918, v29
	v_dual_sub_f32 v29, v41, v74 :: v_dual_fmac_f32 v12, 0x3e9e377a, v7
	s_delay_alu instid0(VALU_DEP_2) | instskip(SKIP_2) | instid1(VALU_DEP_4)
	v_fmac_f32_e32 v37, 0x3e9e377a, v7
	v_dual_add_f32 v7, v8, v11 :: v_dual_fmamk_f32 v8, v26, 0x3f737871, v38
	v_fmac_f32_e32 v38, 0xbf737871, v26
	v_mul_f32_e32 v24, 0xbf737871, v12
	s_delay_alu instid0(VALU_DEP_4) | instskip(NEXT) | instid1(VALU_DEP_4)
	v_dual_mul_f32 v27, 0xbe9e377a, v37 :: v_dual_sub_f32 v26, v54, v67
	v_fmac_f32_e32 v8, 0xbf167918, v25
	s_delay_alu instid0(VALU_DEP_4) | instskip(NEXT) | instid1(VALU_DEP_2)
	v_fmac_f32_e32 v38, 0x3f167918, v25
	v_fmac_f32_e32 v8, 0x3e9e377a, v7
	s_delay_alu instid0(VALU_DEP_2) | instskip(NEXT) | instid1(VALU_DEP_2)
	v_fmac_f32_e32 v38, 0x3e9e377a, v7
	v_mul_f32_e32 v23, 0x3f737871, v8
	s_delay_alu instid0(VALU_DEP_2) | instskip(SKIP_2) | instid1(VALU_DEP_4)
	v_mul_f32_e32 v28, 0xbe9e377a, v38
	v_fmac_f32_e32 v24, 0x3e9e377a, v8
	v_fmac_f32_e32 v27, 0x3f737871, v38
	;; [unrolled: 1-line block ×3, first 2 shown]
	s_delay_alu instid0(VALU_DEP_4) | instskip(NEXT) | instid1(VALU_DEP_3)
	v_fmac_f32_e32 v28, 0xbf737871, v37
	v_dual_add_f32 v8, v19, v24 :: v_dual_add_f32 v11, v9, v27
	s_delay_alu instid0(VALU_DEP_2)
	v_dual_add_f32 v7, v20, v23 :: v_dual_add_f32 v12, v10, v28
	ds_store_2addr_b64 v84, v[7:8], v[11:12] offset0:6 offset1:9
	v_dual_sub_f32 v7, v47, v82 :: v_dual_sub_f32 v8, v81, v83
	v_dual_add_f32 v11, v15, v13 :: v_dual_add_f32 v12, v16, v14
	ds_store_2addr_b64 v84, v[11:12], v[7:8] offset0:12 offset1:15
	v_sub_f32_e32 v7, v65, v39
	v_dual_sub_f32 v8, v73, v40 :: v_dual_sub_f32 v11, v20, v23
	v_dual_sub_f32 v12, v19, v24 :: v_dual_sub_f32 v19, v46, v79
	v_sub_f32_e32 v24, v42, v75
	ds_store_2addr_b64 v84, v[7:8], v[11:12] offset0:18 offset1:21
	v_dual_sub_f32 v8, v10, v28 :: v_dual_sub_f32 v7, v9, v27
	v_dual_sub_f32 v9, v15, v13 :: v_dual_sub_f32 v10, v16, v14
	v_add_f32_e32 v28, v54, v67
	ds_store_2addr_b64 v84, v[7:8], v[9:10] offset0:24 offset1:27
	v_add_f32_e32 v9, v53, v66
	v_dual_sub_f32 v7, v41, v53 :: v_dual_add_f32 v10, v4, v46
	v_fma_f32 v28, -0.5, v28, v6
	s_delay_alu instid0(VALU_DEP_3) | instskip(SKIP_1) | instid1(VALU_DEP_4)
	v_fma_f32 v23, -0.5, v9, v5
	v_dual_sub_f32 v8, v74, v66 :: v_dual_add_f32 v9, v3, v45
	v_add_f32_e32 v10, v10, v63
	s_delay_alu instid0(VALU_DEP_4) | instskip(NEXT) | instid1(VALU_DEP_4)
	v_fmamk_f32 v32, v29, 0xbf737871, v28
	v_fmamk_f32 v25, v24, 0x3f737871, v23
	v_fmac_f32_e32 v23, 0xbf737871, v24
	v_add_f32_e32 v11, v7, v8
	v_sub_f32_e32 v7, v42, v54
	v_add_f32_e32 v9, v9, v57
	v_fmac_f32_e32 v25, 0x3f167918, v26
	v_dual_fmac_f32 v23, 0xbf167918, v26 :: v_dual_add_f32 v10, v10, v71
	s_delay_alu instid0(VALU_DEP_3) | instskip(NEXT) | instid1(VALU_DEP_3)
	v_dual_fmac_f32 v32, 0xbf167918, v33 :: v_dual_add_f32 v9, v9, v70
	v_fmac_f32_e32 v25, 0x3e9e377a, v11
	v_sub_f32_e32 v20, v63, v71
	v_sub_f32_e32 v8, v75, v67
	v_fmac_f32_e32 v23, 0x3e9e377a, v11
	v_fmac_f32_e32 v28, 0x3f737871, v29
	s_delay_alu instid0(VALU_DEP_3) | instskip(SKIP_1) | instid1(VALU_DEP_3)
	v_dual_add_f32 v12, v7, v8 :: v_dual_sub_f32 v7, v45, v57
	v_sub_f32_e32 v8, v78, v70
	v_fmac_f32_e32 v28, 0x3f167918, v33
	s_delay_alu instid0(VALU_DEP_3) | instskip(NEXT) | instid1(VALU_DEP_3)
	v_fmac_f32_e32 v32, 0x3e9e377a, v12
	v_add_f32_e32 v13, v7, v8
	v_sub_f32_e32 v7, v46, v63
	v_sub_f32_e32 v8, v79, v71
	v_fmac_f32_e32 v28, 0x3e9e377a, v12
	s_delay_alu instid0(VALU_DEP_2) | instskip(NEXT) | instid1(VALU_DEP_1)
	v_dual_add_f32 v14, v7, v8 :: v_dual_add_f32 v7, v57, v70
	v_fma_f32 v15, -0.5, v7, v3
	v_add_f32_e32 v7, v63, v71
	s_delay_alu instid0(VALU_DEP_2) | instskip(SKIP_1) | instid1(VALU_DEP_3)
	v_fmamk_f32 v8, v19, 0x3f737871, v15
	v_fmac_f32_e32 v15, 0xbf737871, v19
	v_fma_f32 v16, -0.5, v7, v4
	s_delay_alu instid0(VALU_DEP_2) | instskip(NEXT) | instid1(VALU_DEP_2)
	v_fmac_f32_e32 v15, 0xbf167918, v20
	v_fmamk_f32 v7, v17, 0xbf737871, v16
	v_fmac_f32_e32 v16, 0x3f737871, v17
	s_delay_alu instid0(VALU_DEP_3) | instskip(NEXT) | instid1(VALU_DEP_1)
	v_fmac_f32_e32 v15, 0x3e9e377a, v13
	v_mul_f32_e32 v11, 0xbf4f1bbd, v15
	s_delay_alu instid0(VALU_DEP_3) | instskip(SKIP_1) | instid1(VALU_DEP_2)
	v_fmac_f32_e32 v16, 0x3f167918, v18
	v_fmac_f32_e32 v7, 0xbf167918, v18
	;; [unrolled: 1-line block ×3, first 2 shown]
	s_delay_alu instid0(VALU_DEP_2) | instskip(NEXT) | instid1(VALU_DEP_2)
	v_fmac_f32_e32 v7, 0x3e9e377a, v14
	v_fmac_f32_e32 v11, 0x3f167918, v16
	s_delay_alu instid0(VALU_DEP_2) | instskip(SKIP_1) | instid1(VALU_DEP_2)
	v_dual_fmac_f32 v8, 0x3f167918, v20 :: v_dual_mul_f32 v21, 0x3f167918, v7
	v_mul_f32_e32 v12, 0xbf4f1bbd, v16
	v_fmac_f32_e32 v8, 0x3e9e377a, v13
	s_delay_alu instid0(VALU_DEP_2) | instskip(NEXT) | instid1(VALU_DEP_2)
	v_fmac_f32_e32 v12, 0xbf167918, v15
	v_fmac_f32_e32 v21, 0x3f4f1bbd, v8
	v_mul_f32_e32 v22, 0xbf167918, v8
	v_add_f32_e32 v8, v5, v41
	s_delay_alu instid0(VALU_DEP_2) | instskip(NEXT) | instid1(VALU_DEP_2)
	v_fmac_f32_e32 v22, 0x3f4f1bbd, v7
	v_add_f32_e32 v8, v8, v53
	v_mad_u16 v7, v35, 30, v36
	v_dual_add_f32 v35, v9, v78 :: v_dual_add_f32 v36, v10, v79
	s_delay_alu instid0(VALU_DEP_3) | instskip(NEXT) | instid1(VALU_DEP_3)
	v_dual_add_f32 v9, v25, v21 :: v_dual_add_f32 v8, v8, v66
	v_dual_add_f32 v10, v32, v22 :: v_dual_and_b32 v37, 0xffff, v7
	s_delay_alu instid0(VALU_DEP_2) | instskip(NEXT) | instid1(VALU_DEP_2)
	v_add_f32_e32 v27, v8, v74
	v_dual_add_f32 v8, v6, v42 :: v_dual_lshlrev_b32 v37, 3, v37
	s_delay_alu instid0(VALU_DEP_1) | instskip(NEXT) | instid1(VALU_DEP_2)
	v_dual_add_f32 v7, v27, v35 :: v_dual_add_f32 v8, v8, v54
	v_mov_b32_e32 v43, v37
	s_clause 0x1
	scratch_store_b32 off, v84, off offset:420
	scratch_store_b32 off, v106, off offset:472
	v_add_f32_e32 v8, v8, v67
	scratch_store_b32 off, v43, off offset:424 ; 4-byte Folded Spill
	v_add_f32_e32 v34, v8, v75
	s_delay_alu instid0(VALU_DEP_1) | instskip(SKIP_4) | instid1(VALU_DEP_3)
	v_add_f32_e32 v8, v34, v36
	ds_store_2addr_b64 v37, v[7:8], v[9:10] offset1:3
	v_dual_add_f32 v9, v41, v74 :: v_dual_add_f32 v10, v42, v75
	v_dual_sub_f32 v7, v53, v41 :: v_dual_sub_f32 v8, v66, v74
	v_sub_f32_e32 v37, v67, v75
	v_fma_f32 v5, -0.5, v9, v5
	s_delay_alu instid0(VALU_DEP_4) | instskip(NEXT) | instid1(VALU_DEP_4)
	v_fmac_f32_e32 v6, -0.5, v10
	v_dual_add_f32 v10, v45, v78 :: v_dual_add_f32 v7, v7, v8
	v_sub_f32_e32 v8, v54, v42
	s_delay_alu instid0(VALU_DEP_4) | instskip(NEXT) | instid1(VALU_DEP_4)
	v_fmamk_f32 v9, v26, 0xbf737871, v5
	v_dual_fmac_f32 v5, 0x3f737871, v26 :: v_dual_fmamk_f32 v38, v33, 0x3f737871, v6
	s_delay_alu instid0(VALU_DEP_4) | instskip(NEXT) | instid1(VALU_DEP_3)
	v_dual_fmac_f32 v6, 0xbf737871, v33 :: v_dual_fmac_f32 v3, -0.5, v10
	v_fmac_f32_e32 v9, 0x3f167918, v24
	s_delay_alu instid0(VALU_DEP_3) | instskip(NEXT) | instid1(VALU_DEP_3)
	v_dual_fmac_f32 v5, 0xbf167918, v24 :: v_dual_fmac_f32 v38, 0xbf167918, v29
	v_fmac_f32_e32 v6, 0x3f167918, v29
	v_sub_f32_e32 v10, v71, v79
	s_delay_alu instid0(VALU_DEP_4) | instskip(NEXT) | instid1(VALU_DEP_4)
	v_fmac_f32_e32 v9, 0x3e9e377a, v7
	v_fmac_f32_e32 v5, 0x3e9e377a, v7
	v_add_f32_e32 v7, v8, v37
	v_dual_sub_f32 v8, v57, v45 :: v_dual_sub_f32 v37, v70, v78
	s_delay_alu instid0(VALU_DEP_2) | instskip(NEXT) | instid1(VALU_DEP_2)
	v_fmac_f32_e32 v38, 0x3e9e377a, v7
	v_dual_fmac_f32 v6, 0x3e9e377a, v7 :: v_dual_add_f32 v7, v8, v37
	v_dual_add_f32 v8, v46, v79 :: v_dual_fmamk_f32 v37, v20, 0xbf737871, v3
	v_fmac_f32_e32 v3, 0x3f737871, v20
	s_delay_alu instid0(VALU_DEP_2) | instskip(NEXT) | instid1(VALU_DEP_3)
	v_fmac_f32_e32 v4, -0.5, v8
	v_dual_sub_f32 v8, v63, v46 :: v_dual_fmac_f32 v37, 0x3f167918, v19
	s_delay_alu instid0(VALU_DEP_3) | instskip(NEXT) | instid1(VALU_DEP_2)
	v_fmac_f32_e32 v3, 0xbf167918, v19
	v_fmac_f32_e32 v37, 0x3e9e377a, v7
	s_delay_alu instid0(VALU_DEP_2) | instskip(NEXT) | instid1(VALU_DEP_4)
	v_fmac_f32_e32 v3, 0x3e9e377a, v7
	v_dual_add_f32 v7, v8, v10 :: v_dual_fmamk_f32 v8, v18, 0x3f737871, v4
	v_fmac_f32_e32 v4, 0xbf737871, v18
	s_delay_alu instid0(VALU_DEP_3) | instskip(NEXT) | instid1(VALU_DEP_3)
	v_mul_f32_e32 v39, 0xbe9e377a, v3
	v_fmac_f32_e32 v8, 0xbf167918, v17
	s_delay_alu instid0(VALU_DEP_3) | instskip(NEXT) | instid1(VALU_DEP_2)
	v_fmac_f32_e32 v4, 0x3f167918, v17
	v_fmac_f32_e32 v8, 0x3e9e377a, v7
	s_delay_alu instid0(VALU_DEP_2) | instskip(NEXT) | instid1(VALU_DEP_2)
	v_fmac_f32_e32 v4, 0x3e9e377a, v7
	v_mul_f32_e32 v10, 0x3f737871, v8
	s_delay_alu instid0(VALU_DEP_2) | instskip(SKIP_1) | instid1(VALU_DEP_3)
	v_mul_f32_e32 v40, 0xbe9e377a, v4
	v_fmac_f32_e32 v39, 0x3f737871, v4
	v_fmac_f32_e32 v10, 0x3e9e377a, v37
	s_delay_alu instid0(VALU_DEP_3) | instskip(NEXT) | instid1(VALU_DEP_3)
	v_dual_mul_f32 v37, 0xbf737871, v37 :: v_dual_fmac_f32 v40, 0xbf737871, v3
	v_add_f32_e32 v7, v5, v39
	s_delay_alu instid0(VALU_DEP_3) | instskip(NEXT) | instid1(VALU_DEP_3)
	v_add_f32_e32 v3, v9, v10
	v_fmac_f32_e32 v37, 0x3e9e377a, v8
	s_delay_alu instid0(VALU_DEP_4) | instskip(NEXT) | instid1(VALU_DEP_2)
	v_add_f32_e32 v8, v6, v40
	v_add_f32_e32 v4, v38, v37
	ds_store_2addr_b64 v43, v[3:4], v[7:8] offset0:6 offset1:9
	v_dual_sub_f32 v3, v27, v35 :: v_dual_sub_f32 v4, v34, v36
	v_dual_add_f32 v7, v23, v11 :: v_dual_add_f32 v8, v28, v12
	ds_store_2addr_b64 v43, v[7:8], v[3:4] offset0:12 offset1:15
	v_sub_f32_e32 v7, v9, v10
	v_lshrrev_b16 v9, 12, v0
	v_lshrrev_b16 v10, 12, v1
	v_dual_sub_f32 v3, v25, v21 :: v_dual_sub_f32 v4, v32, v22
	v_sub_f32_e32 v8, v38, v37
	s_delay_alu instid0(VALU_DEP_4) | instskip(NEXT) | instid1(VALU_DEP_4)
	v_mul_lo_u16 v0, v9, 30
	v_mul_lo_u16 v1, v10, 30
	ds_store_2addr_b64 v43, v[3:4], v[7:8] offset0:18 offset1:21
	v_sub_nc_u16 v0, v48, v0
	v_sub_f32_e32 v3, v5, v39
	v_sub_f32_e32 v5, v23, v11
	v_sub_nc_u16 v1, v31, v1
	v_sub_f32_e32 v4, v6, v40
	v_and_b32_e32 v11, 0xff, v0
	v_sub_f32_e32 v6, v28, v12
	s_delay_alu instid0(VALU_DEP_4) | instskip(NEXT) | instid1(VALU_DEP_3)
	v_and_b32_e32 v12, 0xff, v1
	v_mad_u64_u32 v[0:1], null, 0x48, v11, s[10:11]
	ds_store_2addr_b64 v43, v[3:4], v[5:6] offset0:24 offset1:27
	s_waitcnt lgkmcnt(0)
	s_waitcnt_vscnt null, 0x0
	s_barrier
	buffer_gl0_inv
	ds_load_2addr_b64 v[3:6], v187 offset0:28 offset1:118
	s_clause 0x1
	global_load_b128 v[80:83], v[0:1], off offset:216
	global_load_b128 v[88:91], v[0:1], off offset:232
	s_waitcnt vmcnt(1) lgkmcnt(0)
	v_mul_f32_e32 v7, v4, v83
	v_mul_f32_e32 v14, v3, v83
	s_delay_alu instid0(VALU_DEP_2)
	v_fma_f32 v13, v3, v82, -v7
	v_mad_u64_u32 v[7:8], null, 0x48, v12, s[10:11]
	s_clause 0x1
	global_load_b64 v[70:71], v[0:1], off offset:280
	global_load_b128 v[84:87], v[7:8], off offset:216
	s_waitcnt vmcnt(0)
	v_dual_fmac_f32 v14, v4, v82 :: v_dual_mul_f32 v3, v6, v87
	v_mul_f32_e32 v16, v5, v87
	s_delay_alu instid0(VALU_DEP_2) | instskip(NEXT) | instid1(VALU_DEP_2)
	v_fma_f32 v15, v5, v86, -v3
	v_fmac_f32_e32 v16, v6, v86
	ds_load_2addr_b64 v[3:6], v243 offset0:56 offset1:146
	s_clause 0x3
	global_load_b128 v[92:95], v[7:8], off offset:232
	global_load_b128 v[104:107], v[7:8], off offset:248
	global_load_b128 v[100:103], v[0:1], off offset:248
	global_load_b128 v[112:115], v[0:1], off offset:264
	s_waitcnt lgkmcnt(0)
	v_mul_f32_e32 v17, v4, v91
	v_mul_f32_e32 v18, v3, v91
	s_delay_alu instid0(VALU_DEP_2) | instskip(SKIP_1) | instid1(VALU_DEP_2)
	v_fma_f32 v17, v3, v90, -v17
	s_waitcnt vmcnt(3)
	v_dual_fmac_f32 v18, v4, v90 :: v_dual_mul_f32 v3, v6, v95
	v_mul_f32_e32 v20, v5, v95
	s_delay_alu instid0(VALU_DEP_2) | instskip(NEXT) | instid1(VALU_DEP_2)
	v_fma_f32 v19, v5, v94, -v3
	v_fmac_f32_e32 v20, v6, v94
	ds_load_2addr_b64 v[3:6], v189 offset0:84 offset1:174
	s_waitcnt vmcnt(1) lgkmcnt(0)
	v_mul_f32_e32 v0, v4, v103
	v_mul_f32_e32 v22, v3, v103
	;; [unrolled: 1-line block ×3, first 2 shown]
	s_delay_alu instid0(VALU_DEP_3) | instskip(SKIP_1) | instid1(VALU_DEP_4)
	v_fma_f32 v21, v3, v102, -v0
	v_mul_f32_e32 v0, v6, v107
	v_fmac_f32_e32 v22, v4, v102
	s_delay_alu instid0(VALU_DEP_3) | instskip(NEXT) | instid1(VALU_DEP_3)
	v_dual_fmac_f32 v24, v6, v106 :: v_dual_sub_f32 v201, v17, v21
	v_fma_f32 v23, v5, v106, -v0
	ds_load_2addr_b64 v[3:6], v232 offset0:112 offset1:202
	s_clause 0x1
	global_load_b64 v[74:75], v[7:8], off offset:280
	global_load_b128 v[116:119], v[7:8], off offset:264
	v_dual_mov_b32 v7, v70 :: v_dual_mov_b32 v8, v71
	s_waitcnt vmcnt(2) lgkmcnt(0)
	v_dual_sub_f32 v197, v18, v22 :: v_dual_mul_f32 v0, v4, v115
	v_mul_f32_e32 v26, v3, v115
	s_delay_alu instid0(VALU_DEP_2) | instskip(NEXT) | instid1(VALU_DEP_1)
	v_fma_f32 v25, v3, v114, -v0
	v_dual_fmac_f32 v26, v4, v114 :: v_dual_sub_f32 v199, v13, v25
	s_delay_alu instid0(VALU_DEP_1) | instskip(SKIP_3) | instid1(VALU_DEP_2)
	v_sub_f32_e32 v195, v14, v26
	s_waitcnt vmcnt(0)
	v_mul_f32_e32 v0, v6, v119
	v_mul_f32_e32 v28, v5, v119
	v_fma_f32 v27, v5, v118, -v0
	v_mul_u32_u24_e32 v0, 0x8889, v2
	s_delay_alu instid0(VALU_DEP_3) | instskip(NEXT) | instid1(VALU_DEP_2)
	v_fmac_f32_e32 v28, v6, v118
	v_lshrrev_b32_e32 v29, 20, v0
	s_delay_alu instid0(VALU_DEP_1) | instskip(NEXT) | instid1(VALU_DEP_1)
	v_mul_lo_u16 v0, v29, 30
	v_sub_nc_u16 v32, v30, v0
	s_delay_alu instid0(VALU_DEP_1) | instskip(NEXT) | instid1(VALU_DEP_1)
	v_mul_lo_u16 v0, 0x48, v32
	v_and_b32_e32 v0, 0xffff, v0
	s_delay_alu instid0(VALU_DEP_1) | instskip(NEXT) | instid1(VALU_DEP_1)
	v_add_co_u32 v4, s2, s10, v0
	v_add_co_ci_u32_e64 v5, null, s11, 0, s2
	ds_load_2addr_b64 v[0:3], v233 offset0:104 offset1:194
	s_clause 0x1
	global_load_b128 v[96:99], v[4:5], off offset:216
	global_load_b128 v[108:111], v[4:5], off offset:232
	s_waitcnt lgkmcnt(0)
	v_mul_f32_e32 v6, v1, v85
	v_mul_f32_e32 v34, v0, v85
	s_delay_alu instid0(VALU_DEP_2) | instskip(NEXT) | instid1(VALU_DEP_2)
	v_fma_f32 v33, v0, v84, -v6
	v_fmac_f32_e32 v34, v1, v84
	s_waitcnt vmcnt(1)
	v_mul_f32_e32 v0, v3, v97
	v_mul_f32_e32 v36, v2, v97
	s_delay_alu instid0(VALU_DEP_2) | instskip(NEXT) | instid1(VALU_DEP_2)
	v_fma_f32 v35, v2, v96, -v0
	v_fmac_f32_e32 v36, v3, v96
	ds_load_2addr_b64 v[0:3], v208 offset0:80 offset1:170
	s_waitcnt lgkmcnt(0)
	v_mul_f32_e32 v6, v3, v89
	v_mul_f32_e32 v38, v2, v89
	;; [unrolled: 1-line block ×3, first 2 shown]
	s_delay_alu instid0(VALU_DEP_3) | instskip(SKIP_1) | instid1(VALU_DEP_4)
	v_fma_f32 v37, v2, v88, -v6
	v_mul_f32_e32 v2, v1, v99
	v_fmac_f32_e32 v38, v3, v88
	s_delay_alu instid0(VALU_DEP_4) | instskip(NEXT) | instid1(VALU_DEP_3)
	v_fmac_f32_e32 v40, v1, v98
	v_fma_f32 v39, v0, v98, -v2
	ds_load_2addr_b64 v[0:3], v235 offset0:132 offset1:222
	s_waitcnt lgkmcnt(0)
	v_mul_f32_e32 v6, v1, v93
	v_mul_f32_e32 v42, v0, v93
	s_waitcnt vmcnt(0)
	v_mul_f32_e32 v44, v2, v109
	s_delay_alu instid0(VALU_DEP_3) | instskip(SKIP_2) | instid1(VALU_DEP_4)
	v_fma_f32 v41, v0, v92, -v6
	v_mul_f32_e32 v0, v3, v109
	v_fmac_f32_e32 v42, v1, v92
	v_fmac_f32_e32 v44, v3, v108
	s_delay_alu instid0(VALU_DEP_3)
	v_fma_f32 v43, v2, v108, -v0
	ds_load_2addr_b64 v[0:3], v207 offset0:108 offset1:198
	s_waitcnt lgkmcnt(0)
	v_mul_f32_e32 v6, v3, v101
	v_mul_f32_e32 v46, v2, v101
	v_mul_f32_e32 v52, v0, v111
	s_delay_alu instid0(VALU_DEP_3) | instskip(SKIP_1) | instid1(VALU_DEP_4)
	v_fma_f32 v45, v2, v100, -v6
	v_mul_f32_e32 v2, v1, v111
	v_fmac_f32_e32 v46, v3, v100
	s_delay_alu instid0(VALU_DEP_4) | instskip(NEXT) | instid1(VALU_DEP_3)
	v_fmac_f32_e32 v52, v1, v110
	v_fma_f32 v47, v0, v110, -v2
	ds_load_2addr_b64 v[0:3], v222 offset0:160 offset1:250
	s_clause 0x1
	global_load_b128 v[120:123], v[4:5], off offset:248
	global_load_b128 v[124:127], v[4:5], off offset:264
	scratch_store_b64 off, v[7:8], off offset:396 ; 8-byte Folded Spill
	s_waitcnt lgkmcnt(0)
	v_mul_f32_e32 v6, v1, v105
	v_mul_f32_e32 v54, v0, v105
	s_delay_alu instid0(VALU_DEP_2) | instskip(NEXT) | instid1(VALU_DEP_2)
	v_fma_f32 v53, v0, v104, -v6
	v_fmac_f32_e32 v54, v1, v104
	s_waitcnt vmcnt(1)
	v_mul_f32_e32 v0, v3, v121
	v_mul_f32_e32 v56, v2, v121
	s_delay_alu instid0(VALU_DEP_2) | instskip(NEXT) | instid1(VALU_DEP_2)
	v_fma_f32 v55, v2, v120, -v0
	v_fmac_f32_e32 v56, v3, v120
	ds_load_2addr_b64 v[0:3], v236 offset0:8 offset1:98
	s_waitcnt lgkmcnt(0)
	v_mul_f32_e32 v6, v3, v113
	v_mul_f32_e32 v63, v2, v113
	v_mul_f32_e32 v65, v0, v123
	s_delay_alu instid0(VALU_DEP_3) | instskip(NEXT) | instid1(VALU_DEP_3)
	v_fma_f32 v57, v2, v112, -v6
	v_dual_mul_f32 v2, v1, v123 :: v_dual_fmac_f32 v63, v3, v112
	s_delay_alu instid0(VALU_DEP_3) | instskip(NEXT) | instid1(VALU_DEP_3)
	v_fmac_f32_e32 v65, v1, v122
	v_sub_f32_e32 v188, v45, v57
	s_delay_alu instid0(VALU_DEP_3)
	v_fma_f32 v64, v0, v122, -v2
	ds_load_2addr_b64 v[0:3], v234 offset0:60 offset1:150
	s_waitcnt lgkmcnt(0)
	v_dual_sub_f32 v191, v46, v63 :: v_dual_mul_f32 v6, v1, v117
	v_mul_f32_e32 v67, v0, v117
	s_waitcnt vmcnt(0)
	v_mul_f32_e32 v69, v2, v125
	s_delay_alu instid0(VALU_DEP_3) | instskip(NEXT) | instid1(VALU_DEP_3)
	v_fma_f32 v66, v0, v116, -v6
	v_dual_mul_f32 v0, v3, v125 :: v_dual_fmac_f32 v67, v1, v116
	s_delay_alu instid0(VALU_DEP_3) | instskip(NEXT) | instid1(VALU_DEP_2)
	v_fmac_f32_e32 v69, v3, v124
	v_fma_f32 v68, v2, v124, -v0
	ds_load_2addr_b64 v[0:3], v224 offset0:36 offset1:126
	s_waitcnt lgkmcnt(0)
	v_mul_f32_e32 v6, v3, v8
	v_mul_f32_e32 v71, v2, v8
	;; [unrolled: 1-line block ×3, first 2 shown]
	s_delay_alu instid0(VALU_DEP_3) | instskip(NEXT) | instid1(VALU_DEP_3)
	v_fma_f32 v70, v2, v7, -v6
	v_fmac_f32_e32 v71, v3, v7
	global_load_b64 v[7:8], v[4:5], off offset:280
	v_mul_f32_e32 v2, v1, v127
	v_fmac_f32_e32 v73, v1, v126
	v_dual_mov_b32 v5, v74 :: v_dual_mov_b32 v6, v75
	v_sub_f32_e32 v190, v38, v71
	s_delay_alu instid0(VALU_DEP_4)
	v_fma_f32 v72, v0, v126, -v2
	ds_load_2addr_b64 v[0:3], v185 offset0:88 offset1:178
	v_sub_f32_e32 v186, v37, v70
	scratch_store_b64 off, v[5:6], off offset:404 ; 8-byte Folded Spill
	s_waitcnt lgkmcnt(0)
	v_mul_f32_e32 v4, v1, v6
	v_mul_f32_e32 v75, v0, v6
	s_delay_alu instid0(VALU_DEP_2) | instskip(NEXT) | instid1(VALU_DEP_2)
	v_fma_f32 v74, v0, v5, -v4
	v_fmac_f32_e32 v75, v1, v5
	s_waitcnt vmcnt(0)
	v_dual_sub_f32 v1, v25, v21 :: v_dual_mul_f32 v0, v3, v8
	v_mul_f32_e32 v77, v2, v8
	scratch_store_b64 off, v[7:8], off offset:476 ; 8-byte Folded Spill
	v_fma_f32 v76, v2, v7, -v0
	v_dual_sub_f32 v0, v13, v17 :: v_dual_fmac_f32 v77, v3, v7
	s_delay_alu instid0(VALU_DEP_1) | instskip(SKIP_2) | instid1(VALU_DEP_1)
	v_add_f32_e32 v78, v0, v1
	v_sub_f32_e32 v0, v14, v18
	v_sub_f32_e32 v1, v26, v22
	v_add_f32_e32 v79, v0, v1
	v_sub_f32_e32 v0, v37, v45
	v_sub_f32_e32 v1, v70, v57
	s_delay_alu instid0(VALU_DEP_1) | instskip(SKIP_1) | instid1(VALU_DEP_1)
	v_dual_add_f32 v177, v0, v1 :: v_dual_sub_f32 v0, v38, v46
	v_sub_f32_e32 v1, v71, v63
	v_add_f32_e32 v178, v0, v1
	ds_load_2addr_b64 v[0:3], v244 offset0:52 offset1:142
	s_waitcnt lgkmcnt(0)
	v_mul_f32_e32 v4, v3, v81
	v_mul_f32_e32 v182, v2, v81
	s_delay_alu instid0(VALU_DEP_2) | instskip(SKIP_1) | instid1(VALU_DEP_2)
	v_fma_f32 v181, v2, v80, -v4
	v_add_f32_e32 v2, v45, v57
	v_dual_fmac_f32 v182, v3, v80 :: v_dual_add_f32 v7, v181, v37
	s_delay_alu instid0(VALU_DEP_2) | instskip(SKIP_1) | instid1(VALU_DEP_3)
	v_fma_f32 v183, -0.5, v2, v181
	v_add_f32_e32 v2, v46, v63
	v_dual_add_f32 v8, v182, v38 :: v_dual_add_f32 v7, v7, v45
	s_delay_alu instid0(VALU_DEP_3) | instskip(NEXT) | instid1(VALU_DEP_3)
	v_fmamk_f32 v3, v190, 0x3f737871, v183
	v_fma_f32 v184, -0.5, v2, v182
	s_delay_alu instid0(VALU_DEP_3)
	v_add_f32_e32 v8, v8, v46
	v_fmac_f32_e32 v183, 0xbf737871, v190
	v_add_f32_e32 v7, v7, v57
	v_fmac_f32_e32 v3, 0x3f167918, v191
	v_fmamk_f32 v2, v186, 0xbf737871, v184
	v_add_f32_e32 v8, v8, v63
	v_fmac_f32_e32 v184, 0x3f737871, v186
	v_add_f32_e32 v203, v7, v70
	v_fmac_f32_e32 v3, 0x3e9e377a, v177
	v_fmac_f32_e32 v2, 0xbf167918, v188
	v_add_f32_e32 v204, v8, v71
	v_fmac_f32_e32 v183, 0xbf167918, v191
	v_fmac_f32_e32 v184, 0x3f167918, v188
	v_mul_f32_e32 v193, 0xbf167918, v3
	s_delay_alu instid0(VALU_DEP_3) | instskip(NEXT) | instid1(VALU_DEP_3)
	v_dual_fmac_f32 v2, 0x3e9e377a, v178 :: v_dual_fmac_f32 v183, 0x3e9e377a, v177
	v_fmac_f32_e32 v184, 0x3e9e377a, v178
	s_delay_alu instid0(VALU_DEP_2) | instskip(NEXT) | instid1(VALU_DEP_4)
	v_mul_f32_e32 v192, 0x3f167918, v2
	v_fmac_f32_e32 v193, 0x3f4f1bbd, v2
	v_dual_add_f32 v9, v18, v22 :: v_dual_and_b32 v2, 0xffff, v9
	s_delay_alu instid0(VALU_DEP_3) | instskip(NEXT) | instid1(VALU_DEP_2)
	v_fmac_f32_e32 v192, 0x3f4f1bbd, v3
	v_mul_u32_u24_e32 v2, 0x12c, v2
	s_delay_alu instid0(VALU_DEP_1)
	v_add_lshl_u32 v206, v2, v11, 3
	ds_load_2addr_b64 v[2:5], v179 offset1:90
	s_waitcnt lgkmcnt(0)
	s_waitcnt_vscnt null, 0x0
	s_barrier
	buffer_gl0_inv
	v_add_f32_e32 v6, v2, v13
	v_fma_f32 v198, -0.5, v9, v3
	s_delay_alu instid0(VALU_DEP_2) | instskip(NEXT) | instid1(VALU_DEP_2)
	v_add_f32_e32 v6, v6, v17
	v_fmamk_f32 v200, v199, 0xbf737871, v198
	v_fmac_f32_e32 v198, 0x3f737871, v199
	s_delay_alu instid0(VALU_DEP_3) | instskip(NEXT) | instid1(VALU_DEP_3)
	v_add_f32_e32 v6, v6, v21
	v_fmac_f32_e32 v200, 0xbf167918, v201
	s_delay_alu instid0(VALU_DEP_3) | instskip(NEXT) | instid1(VALU_DEP_3)
	v_fmac_f32_e32 v198, 0x3f167918, v201
	v_add_f32_e32 v11, v6, v25
	v_add_f32_e32 v6, v17, v21
	s_delay_alu instid0(VALU_DEP_4) | instskip(NEXT) | instid1(VALU_DEP_4)
	v_fmac_f32_e32 v200, 0x3e9e377a, v79
	v_fmac_f32_e32 v198, 0x3e9e377a, v79
	s_delay_alu instid0(VALU_DEP_3) | instskip(NEXT) | instid1(VALU_DEP_3)
	v_fma_f32 v194, -0.5, v6, v2
	v_dual_add_f32 v6, v3, v14 :: v_dual_add_f32 v9, v200, v193
	s_delay_alu instid0(VALU_DEP_2) | instskip(NEXT) | instid1(VALU_DEP_2)
	v_fmamk_f32 v196, v195, 0x3f737871, v194
	v_add_f32_e32 v6, v6, v18
	v_fmac_f32_e32 v194, 0xbf737871, v195
	s_delay_alu instid0(VALU_DEP_3) | instskip(NEXT) | instid1(VALU_DEP_3)
	v_fmac_f32_e32 v196, 0x3f167918, v197
	v_add_f32_e32 v6, v6, v22
	s_delay_alu instid0(VALU_DEP_3) | instskip(NEXT) | instid1(VALU_DEP_3)
	v_fmac_f32_e32 v194, 0xbf167918, v197
	v_fmac_f32_e32 v196, 0x3e9e377a, v78
	s_delay_alu instid0(VALU_DEP_3) | instskip(SKIP_1) | instid1(VALU_DEP_4)
	v_add_f32_e32 v202, v6, v26
	v_add_f32_e32 v6, v11, v203
	v_fmac_f32_e32 v194, 0x3e9e377a, v78
	s_delay_alu instid0(VALU_DEP_4) | instskip(NEXT) | instid1(VALU_DEP_4)
	v_add_f32_e32 v8, v196, v192
	v_add_f32_e32 v7, v202, v204
	ds_store_2addr_b64 v206, v[6:7], v[8:9] offset1:30
	v_add_f32_e32 v8, v13, v25
	v_sub_f32_e32 v6, v17, v13
	v_sub_f32_e32 v7, v21, v25
	v_add_f32_e32 v13, v37, v70
	v_mul_f32_e32 v25, 0xbf4f1bbd, v184
	v_fma_f32 v8, -0.5, v8, v2
	v_sub_f32_e32 v2, v18, v14
	v_add_f32_e32 v6, v6, v7
	v_add_f32_e32 v7, v14, v26
	v_fmac_f32_e32 v181, -0.5, v13
	v_fmamk_f32 v9, v197, 0xbf737871, v8
	v_fmac_f32_e32 v8, 0x3f737871, v197
	v_sub_f32_e32 v14, v57, v70
	v_fma_f32 v17, -0.5, v7, v3
	v_add_f32_e32 v3, v38, v71
	v_fmac_f32_e32 v9, 0x3f167918, v195
	v_fmac_f32_e32 v8, 0xbf167918, v195
	v_fmamk_f32 v7, v191, 0xbf737871, v181
	v_fmamk_f32 v18, v201, 0x3f737871, v17
	v_fmac_f32_e32 v17, 0xbf737871, v201
	v_fmac_f32_e32 v9, 0x3e9e377a, v6
	;; [unrolled: 1-line block ×3, first 2 shown]
	v_sub_f32_e32 v6, v22, v26
	v_fmac_f32_e32 v18, 0xbf167918, v199
	v_fmac_f32_e32 v17, 0x3f167918, v199
	;; [unrolled: 1-line block ×3, first 2 shown]
	v_fmac_f32_e32 v182, -0.5, v3
	v_add_f32_e32 v2, v2, v6
	v_dual_sub_f32 v6, v45, v37 :: v_dual_sub_f32 v3, v46, v38
	v_fmac_f32_e32 v7, 0x3f167918, v190
	v_fmac_f32_e32 v181, 0xbf167918, v190
	s_delay_alu instid0(VALU_DEP_4)
	v_fmac_f32_e32 v18, 0x3e9e377a, v2
	v_fmac_f32_e32 v17, 0x3e9e377a, v2
	v_add_f32_e32 v2, v6, v14
	v_sub_f32_e32 v6, v63, v71
	v_sub_f32_e32 v63, v15, v27
	v_dual_fmac_f32 v25, 0xbf167918, v183 :: v_dual_sub_f32 v46, v20, v24
	s_delay_alu instid0(VALU_DEP_4) | instskip(SKIP_3) | instid1(VALU_DEP_4)
	v_fmac_f32_e32 v7, 0x3e9e377a, v2
	v_fmac_f32_e32 v181, 0x3e9e377a, v2
	v_dual_add_f32 v2, v3, v6 :: v_dual_fmamk_f32 v3, v188, 0x3f737871, v182
	v_fmac_f32_e32 v182, 0xbf737871, v188
	v_mul_f32_e32 v14, 0xbf737871, v7
	s_delay_alu instid0(VALU_DEP_4) | instskip(SKIP_3) | instid1(VALU_DEP_2)
	v_mul_f32_e32 v21, 0xbe9e377a, v181
	v_sub_f32_e32 v71, v19, v23
	v_fmac_f32_e32 v3, 0xbf167918, v186
	v_fmac_f32_e32 v182, 0x3f167918, v186
	;; [unrolled: 1-line block ×3, first 2 shown]
	s_delay_alu instid0(VALU_DEP_2) | instskip(NEXT) | instid1(VALU_DEP_2)
	v_fmac_f32_e32 v182, 0x3e9e377a, v2
	v_mul_f32_e32 v13, 0x3f737871, v3
	s_delay_alu instid0(VALU_DEP_2) | instskip(SKIP_2) | instid1(VALU_DEP_4)
	v_mul_f32_e32 v22, 0xbe9e377a, v182
	v_fmac_f32_e32 v14, 0x3e9e377a, v3
	v_fmac_f32_e32 v21, 0x3f737871, v182
	;; [unrolled: 1-line block ×3, first 2 shown]
	s_delay_alu instid0(VALU_DEP_3) | instskip(NEXT) | instid1(VALU_DEP_3)
	v_dual_fmac_f32 v22, 0xbf737871, v181 :: v_dual_add_f32 v3, v18, v14
	v_add_f32_e32 v6, v8, v21
	v_sub_f32_e32 v38, v16, v28
	s_delay_alu instid0(VALU_DEP_4) | instskip(NEXT) | instid1(VALU_DEP_4)
	v_add_f32_e32 v2, v9, v13
	v_add_f32_e32 v7, v17, v22
	ds_store_2addr_b64 v206, v[2:3], v[6:7] offset0:60 offset1:90
	v_sub_f32_e32 v2, v11, v203
	v_mul_f32_e32 v11, 0xbf4f1bbd, v183
	v_sub_f32_e32 v3, v202, v204
	v_add_f32_e32 v7, v198, v25
	s_delay_alu instid0(VALU_DEP_3) | instskip(NEXT) | instid1(VALU_DEP_1)
	v_fmac_f32_e32 v11, 0x3f167918, v184
	v_add_f32_e32 v6, v194, v11
	ds_store_2addr_b64 v206, v[6:7], v[2:3] offset0:120 offset1:150
	v_sub_f32_e32 v2, v196, v192
	v_sub_f32_e32 v3, v200, v193
	v_dual_sub_f32 v6, v9, v13 :: v_dual_sub_f32 v7, v18, v14
	v_sub_f32_e32 v18, v41, v74
	ds_store_2addr_b64 v206, v[2:3], v[6:7] offset0:180 offset1:210
	v_dual_sub_f32 v2, v8, v21 :: v_dual_sub_f32 v3, v17, v22
	v_sub_f32_e32 v6, v194, v11
	v_dual_sub_f32 v7, v198, v25 :: v_dual_add_nc_u32 v8, 0x400, v206
	v_sub_f32_e32 v22, v42, v75
	v_sub_f32_e32 v25, v54, v67
	;; [unrolled: 1-line block ×3, first 2 shown]
	ds_store_2addr_b64 v8, v[2:3], v[6:7] offset0:112 offset1:142
	v_sub_f32_e32 v2, v15, v19
	v_sub_f32_e32 v3, v27, v23
	scratch_store_b32 off, v8, off offset:272 ; 4-byte Folded Spill
	v_dual_add_f32 v7, v20, v24 :: v_dual_add_f32 v8, v2, v3
	v_sub_f32_e32 v2, v16, v20
	v_sub_f32_e32 v3, v28, v24
	s_delay_alu instid0(VALU_DEP_3) | instskip(NEXT) | instid1(VALU_DEP_2)
	v_fma_f32 v57, -0.5, v7, v5
	v_dual_add_f32 v9, v2, v3 :: v_dual_sub_f32 v2, v41, v53
	s_delay_alu instid0(VALU_DEP_2) | instskip(SKIP_1) | instid1(VALU_DEP_2)
	v_dual_sub_f32 v3, v74, v66 :: v_dual_fmamk_f32 v70, v63, 0xbf737871, v57
	v_fmac_f32_e32 v57, 0x3f737871, v63
	v_add_f32_e32 v11, v2, v3
	v_dual_sub_f32 v2, v42, v54 :: v_dual_sub_f32 v3, v75, v67
	s_delay_alu instid0(VALU_DEP_4) | instskip(NEXT) | instid1(VALU_DEP_4)
	v_fmac_f32_e32 v70, 0xbf167918, v71
	v_fmac_f32_e32 v57, 0x3f167918, v71
	s_delay_alu instid0(VALU_DEP_3) | instskip(NEXT) | instid1(VALU_DEP_3)
	v_dual_add_f32 v13, v2, v3 :: v_dual_add_f32 v2, v53, v66
	v_fmac_f32_e32 v70, 0x3e9e377a, v9
	s_delay_alu instid0(VALU_DEP_3) | instskip(NEXT) | instid1(VALU_DEP_3)
	v_fmac_f32_e32 v57, 0x3e9e377a, v9
	v_fma_f32 v14, -0.5, v2, v33
	s_delay_alu instid0(VALU_DEP_1) | instskip(SKIP_1) | instid1(VALU_DEP_2)
	v_fmamk_f32 v3, v22, 0x3f737871, v14
	v_fmac_f32_e32 v14, 0xbf737871, v22
	v_dual_fmac_f32 v3, 0x3f167918, v25 :: v_dual_add_f32 v6, v34, v42
	s_delay_alu instid0(VALU_DEP_2) | instskip(NEXT) | instid1(VALU_DEP_2)
	v_fmac_f32_e32 v14, 0xbf167918, v25
	v_dual_fmac_f32 v3, 0x3e9e377a, v11 :: v_dual_add_f32 v6, v6, v54
	s_delay_alu instid0(VALU_DEP_2) | instskip(NEXT) | instid1(VALU_DEP_2)
	v_fmac_f32_e32 v14, 0x3e9e377a, v11
	v_mul_f32_e32 v37, 0xbf167918, v3
	s_delay_alu instid0(VALU_DEP_3) | instskip(NEXT) | instid1(VALU_DEP_1)
	v_add_f32_e32 v6, v6, v67
	v_add_f32_e32 v177, v6, v75
	v_add_f32_e32 v2, v54, v67
	s_delay_alu instid0(VALU_DEP_1) | instskip(NEXT) | instid1(VALU_DEP_1)
	v_fma_f32 v17, -0.5, v2, v34
	v_fmamk_f32 v2, v18, 0xbf737871, v17
	v_fmac_f32_e32 v17, 0x3f737871, v18
	s_delay_alu instid0(VALU_DEP_2) | instskip(NEXT) | instid1(VALU_DEP_2)
	v_fmac_f32_e32 v2, 0xbf167918, v21
	v_fmac_f32_e32 v17, 0x3f167918, v21
	s_delay_alu instid0(VALU_DEP_2) | instskip(NEXT) | instid1(VALU_DEP_2)
	v_fmac_f32_e32 v2, 0x3e9e377a, v13
	v_fmac_f32_e32 v17, 0x3e9e377a, v13
	s_delay_alu instid0(VALU_DEP_2) | instskip(SKIP_2) | instid1(VALU_DEP_4)
	v_dual_sub_f32 v13, v55, v68 :: v_dual_mul_f32 v26, 0x3f167918, v2
	v_fmac_f32_e32 v37, 0x3f4f1bbd, v2
	v_and_b32_e32 v2, 0xffff, v10
	v_mul_f32_e32 v9, 0xbf4f1bbd, v17
	s_delay_alu instid0(VALU_DEP_4) | instskip(NEXT) | instid1(VALU_DEP_3)
	v_dual_fmac_f32 v26, 0x3f4f1bbd, v3 :: v_dual_add_f32 v3, v33, v41
	v_mul_u32_u24_e32 v2, 0x12c, v2
	v_add_f32_e32 v7, v70, v37
	s_delay_alu instid0(VALU_DEP_4) | instskip(NEXT) | instid1(VALU_DEP_4)
	v_fmac_f32_e32 v9, 0xbf167918, v14
	v_add_f32_e32 v3, v3, v53
	s_delay_alu instid0(VALU_DEP_4) | instskip(NEXT) | instid1(VALU_DEP_2)
	v_add_lshl_u32 v178, v2, v12, 3
	v_dual_add_f32 v2, v4, v15 :: v_dual_add_f32 v3, v3, v66
	s_delay_alu instid0(VALU_DEP_1) | instskip(NEXT) | instid1(VALU_DEP_1)
	v_dual_add_f32 v2, v2, v19 :: v_dual_add_f32 v79, v3, v74
	v_add_f32_e32 v2, v2, v23
	s_delay_alu instid0(VALU_DEP_1) | instskip(SKIP_1) | instid1(VALU_DEP_1)
	v_add_f32_e32 v10, v2, v27
	v_add_f32_e32 v2, v19, v23
	v_fma_f32 v12, -0.5, v2, v4
	s_delay_alu instid0(VALU_DEP_1) | instskip(NEXT) | instid1(VALU_DEP_1)
	v_dual_add_f32 v2, v5, v16 :: v_dual_fmamk_f32 v45, v38, 0x3f737871, v12
	v_add_f32_e32 v2, v2, v20
	v_fmac_f32_e32 v12, 0xbf737871, v38
	s_delay_alu instid0(VALU_DEP_2) | instskip(NEXT) | instid1(VALU_DEP_2)
	v_dual_fmac_f32 v45, 0x3f167918, v46 :: v_dual_add_f32 v2, v2, v24
	v_fmac_f32_e32 v12, 0xbf167918, v46
	s_delay_alu instid0(VALU_DEP_2) | instskip(NEXT) | instid1(VALU_DEP_3)
	v_fmac_f32_e32 v45, 0x3e9e377a, v8
	v_add_f32_e32 v78, v2, v28
	v_add_f32_e32 v2, v10, v79
	s_delay_alu instid0(VALU_DEP_4) | instskip(SKIP_1) | instid1(VALU_DEP_4)
	v_fmac_f32_e32 v12, 0x3e9e377a, v8
	v_mul_f32_e32 v8, 0xbf4f1bbd, v14
	v_dual_add_f32 v6, v45, v26 :: v_dual_add_f32 v3, v78, v177
	v_sub_f32_e32 v14, v44, v77
	s_delay_alu instid0(VALU_DEP_3)
	v_fmac_f32_e32 v8, 0x3f167918, v17
	ds_store_2addr_b64 v178, v[2:3], v[6:7] offset1:30
	v_add_f32_e32 v6, v15, v27
	v_sub_f32_e32 v2, v19, v15
	v_sub_f32_e32 v3, v23, v27
	v_add_f32_e32 v7, v16, v28
	v_sub_f32_e32 v15, v24, v28
	v_fma_f32 v4, -0.5, v6, v4
	v_add_f32_e32 v6, v41, v74
	v_dual_add_f32 v2, v2, v3 :: v_dual_sub_f32 v3, v20, v16
	s_delay_alu instid0(VALU_DEP_3) | instskip(SKIP_3) | instid1(VALU_DEP_4)
	v_dual_fmac_f32 v5, -0.5, v7 :: v_dual_fmamk_f32 v16, v46, 0xbf737871, v4
	v_fmac_f32_e32 v4, 0x3f737871, v46
	v_sub_f32_e32 v7, v66, v74
	v_dual_fmac_f32 v33, -0.5, v6 :: v_dual_sub_f32 v6, v67, v75
	v_fmac_f32_e32 v16, 0x3f167918, v38
	s_delay_alu instid0(VALU_DEP_4) | instskip(NEXT) | instid1(VALU_DEP_2)
	v_fmac_f32_e32 v4, 0xbf167918, v38
	v_fmac_f32_e32 v16, 0x3e9e377a, v2
	s_delay_alu instid0(VALU_DEP_2) | instskip(SKIP_4) | instid1(VALU_DEP_3)
	v_fmac_f32_e32 v4, 0x3e9e377a, v2
	v_add_f32_e32 v2, v3, v15
	v_fmamk_f32 v15, v71, 0x3f737871, v5
	v_fmac_f32_e32 v5, 0xbf737871, v71
	v_sub_f32_e32 v3, v53, v41
	v_fmac_f32_e32 v15, 0xbf167918, v63
	s_delay_alu instid0(VALU_DEP_3) | instskip(NEXT) | instid1(VALU_DEP_2)
	v_fmac_f32_e32 v5, 0x3f167918, v63
	v_fmac_f32_e32 v15, 0x3e9e377a, v2
	s_delay_alu instid0(VALU_DEP_2) | instskip(SKIP_3) | instid1(VALU_DEP_3)
	v_dual_fmac_f32 v5, 0x3e9e377a, v2 :: v_dual_add_f32 v2, v3, v7
	v_add_f32_e32 v3, v42, v75
	v_fmamk_f32 v7, v25, 0xbf737871, v33
	v_fmac_f32_e32 v33, 0x3f737871, v25
	v_dual_sub_f32 v25, v39, v72 :: v_dual_fmac_f32 v34, -0.5, v3
	v_sub_f32_e32 v3, v54, v42
	s_delay_alu instid0(VALU_DEP_4) | instskip(NEXT) | instid1(VALU_DEP_4)
	v_fmac_f32_e32 v7, 0x3f167918, v22
	v_dual_fmac_f32 v33, 0xbf167918, v22 :: v_dual_sub_f32 v22, v40, v73
	s_delay_alu instid0(VALU_DEP_2) | instskip(NEXT) | instid1(VALU_DEP_2)
	v_fmac_f32_e32 v7, 0x3e9e377a, v2
	v_fmac_f32_e32 v33, 0x3e9e377a, v2
	v_dual_add_f32 v2, v3, v6 :: v_dual_fmamk_f32 v3, v21, 0x3f737871, v34
	v_fmac_f32_e32 v34, 0xbf737871, v21
	s_delay_alu instid0(VALU_DEP_4) | instskip(NEXT) | instid1(VALU_DEP_4)
	v_mul_f32_e32 v20, 0xbf737871, v7
	v_mul_f32_e32 v23, 0xbe9e377a, v33
	s_delay_alu instid0(VALU_DEP_4) | instskip(NEXT) | instid1(VALU_DEP_4)
	v_fmac_f32_e32 v3, 0xbf167918, v18
	v_fmac_f32_e32 v34, 0x3f167918, v18
	s_delay_alu instid0(VALU_DEP_2) | instskip(NEXT) | instid1(VALU_DEP_2)
	v_fmac_f32_e32 v3, 0x3e9e377a, v2
	v_fmac_f32_e32 v34, 0x3e9e377a, v2
	s_delay_alu instid0(VALU_DEP_2) | instskip(NEXT) | instid1(VALU_DEP_2)
	v_mul_f32_e32 v19, 0x3f737871, v3
	v_mul_f32_e32 v24, 0xbe9e377a, v34
	v_fmac_f32_e32 v20, 0x3e9e377a, v3
	v_dual_fmac_f32 v23, 0x3f737871, v34 :: v_dual_add_f32 v34, v44, v77
	s_delay_alu instid0(VALU_DEP_4) | instskip(NEXT) | instid1(VALU_DEP_3)
	v_fmac_f32_e32 v19, 0x3e9e377a, v7
	v_dual_fmac_f32 v24, 0xbf737871, v33 :: v_dual_add_f32 v3, v15, v20
	s_delay_alu instid0(VALU_DEP_3) | instskip(SKIP_1) | instid1(VALU_DEP_3)
	v_add_f32_e32 v6, v4, v23
	v_sub_f32_e32 v33, v56, v44
	v_dual_add_f32 v2, v16, v19 :: v_dual_add_f32 v7, v5, v24
	ds_store_2addr_b64 v178, v[2:3], v[6:7] offset0:60 offset1:90
	v_sub_f32_e32 v2, v10, v79
	v_dual_sub_f32 v3, v78, v177 :: v_dual_add_f32 v6, v12, v8
	v_add_f32_e32 v7, v57, v9
	ds_store_2addr_b64 v178, v[6:7], v[2:3] offset0:120 offset1:150
	v_dual_sub_f32 v2, v45, v26 :: v_dual_sub_f32 v3, v70, v37
	v_dual_sub_f32 v6, v16, v19 :: v_dual_sub_f32 v7, v15, v20
	v_dual_sub_f32 v15, v56, v69 :: v_dual_add_f32 v20, v47, v64
	v_add_f32_e32 v19, v36, v44
	v_sub_f32_e32 v26, v47, v64
	ds_store_2addr_b64 v178, v[2:3], v[6:7] offset0:180 offset1:210
	v_dual_sub_f32 v3, v5, v24 :: v_dual_sub_f32 v2, v4, v23
	v_dual_sub_f32 v4, v12, v8 :: v_dual_sub_f32 v5, v57, v9
	v_add_nc_u32_e32 v6, 0x400, v178
	scratch_store_b32 off, v206, off offset:312 ; 4-byte Folded Spill
	v_sub_f32_e32 v12, v43, v76
	v_fma_f32 v20, -0.5, v20, v0
	v_add_f32_e32 v19, v19, v56
	ds_store_2addr_b64 v6, v[2:3], v[4:5] offset0:112 offset1:142
	v_dual_sub_f32 v2, v39, v47 :: v_dual_sub_f32 v3, v72, v64
	scratch_store_b32 off, v6, off offset:268 ; 4-byte Folded Spill
	v_dual_add_f32 v4, v1, v40 :: v_dual_add_f32 v5, v35, v43
	v_dual_sub_f32 v23, v52, v65 :: v_dual_add_f32 v6, v2, v3
	v_dual_sub_f32 v2, v40, v52 :: v_dual_sub_f32 v3, v73, v65
	s_delay_alu instid0(VALU_DEP_3) | instskip(SKIP_1) | instid1(VALU_DEP_3)
	v_dual_add_f32 v4, v4, v52 :: v_dual_add_f32 v5, v5, v55
	v_dual_fmamk_f32 v24, v22, 0x3f737871, v20 :: v_dual_add_f32 v19, v19, v69
	v_add_f32_e32 v7, v2, v3
	v_dual_sub_f32 v2, v43, v55 :: v_dual_sub_f32 v3, v76, v68
	s_delay_alu instid0(VALU_DEP_4) | instskip(NEXT) | instid1(VALU_DEP_4)
	v_dual_add_f32 v4, v4, v65 :: v_dual_add_f32 v5, v5, v68
	v_dual_fmac_f32 v24, 0x3f167918, v23 :: v_dual_add_f32 v19, v19, v77
	s_delay_alu instid0(VALU_DEP_3) | instskip(SKIP_1) | instid1(VALU_DEP_4)
	v_add_f32_e32 v8, v2, v3
	v_dual_sub_f32 v2, v44, v56 :: v_dual_sub_f32 v3, v77, v69
	v_add_f32_e32 v28, v4, v73
	s_delay_alu instid0(VALU_DEP_4) | instskip(NEXT) | instid1(VALU_DEP_3)
	v_dual_fmac_f32 v24, 0x3e9e377a, v6 :: v_dual_sub_f32 v37, v69, v77
	v_dual_fmac_f32 v20, 0xbf737871, v22 :: v_dual_add_f32 v9, v2, v3
	v_add_f32_e32 v2, v55, v68
	s_delay_alu instid0(VALU_DEP_2) | instskip(NEXT) | instid1(VALU_DEP_2)
	v_fmac_f32_e32 v20, 0xbf167918, v23
	v_fma_f32 v10, -0.5, v2, v35
	v_add_f32_e32 v2, v56, v69
	s_delay_alu instid0(VALU_DEP_3) | instskip(NEXT) | instid1(VALU_DEP_3)
	v_fmac_f32_e32 v20, 0x3e9e377a, v6
	v_fmamk_f32 v3, v14, 0x3f737871, v10
	s_delay_alu instid0(VALU_DEP_3) | instskip(SKIP_2) | instid1(VALU_DEP_4)
	v_fma_f32 v11, -0.5, v2, v36
	v_fmac_f32_e32 v36, -0.5, v34
	v_fmac_f32_e32 v10, 0xbf737871, v14
	v_fmac_f32_e32 v3, 0x3f167918, v15
	s_delay_alu instid0(VALU_DEP_4) | instskip(SKIP_1) | instid1(VALU_DEP_4)
	v_fmamk_f32 v2, v12, 0xbf737871, v11
	v_fmac_f32_e32 v11, 0x3f737871, v12
	v_fmac_f32_e32 v10, 0xbf167918, v15
	s_delay_alu instid0(VALU_DEP_4) | instskip(NEXT) | instid1(VALU_DEP_4)
	v_fmac_f32_e32 v3, 0x3e9e377a, v8
	v_fmac_f32_e32 v2, 0xbf167918, v13
	s_delay_alu instid0(VALU_DEP_4) | instskip(NEXT) | instid1(VALU_DEP_4)
	;; [unrolled: 3-line block ×3, first 2 shown]
	v_dual_mul_f32 v17, 0xbf167918, v3 :: v_dual_lshlrev_b32 v8, 4, v205
	v_fmac_f32_e32 v2, 0x3e9e377a, v9
	s_delay_alu instid0(VALU_DEP_4) | instskip(NEXT) | instid1(VALU_DEP_4)
	v_fmac_f32_e32 v11, 0x3e9e377a, v9
	v_mul_f32_e32 v6, 0xbf4f1bbd, v10
	s_delay_alu instid0(VALU_DEP_3) | instskip(SKIP_2) | instid1(VALU_DEP_4)
	v_mul_f32_e32 v16, 0x3f167918, v2
	v_fmac_f32_e32 v17, 0x3f4f1bbd, v2
	v_mad_u16 v2, 0x12c, v29, v32
	v_dual_add_f32 v29, v5, v76 :: v_dual_fmac_f32 v6, 0x3f167918, v11
	s_delay_alu instid0(VALU_DEP_4) | instskip(NEXT) | instid1(VALU_DEP_3)
	v_dual_fmac_f32 v16, 0x3f4f1bbd, v3 :: v_dual_add_f32 v3, v52, v65
	v_and_b32_e32 v32, 0xffff, v2
	s_delay_alu instid0(VALU_DEP_2) | instskip(NEXT) | instid1(VALU_DEP_3)
	v_add_f32_e32 v4, v24, v16
	v_fma_f32 v18, -0.5, v3, v1
	s_delay_alu instid0(VALU_DEP_3) | instskip(NEXT) | instid1(VALU_DEP_2)
	v_dual_add_f32 v3, v0, v39 :: v_dual_lshlrev_b32 v32, 3, v32
	v_fmamk_f32 v27, v25, 0xbf737871, v18
	s_delay_alu instid0(VALU_DEP_2) | instskip(NEXT) | instid1(VALU_DEP_3)
	v_add_f32_e32 v3, v3, v47
	v_dual_mov_b32 v41, v32 :: v_dual_fmac_f32 v18, 0x3f737871, v25
	s_delay_alu instid0(VALU_DEP_3) | instskip(NEXT) | instid1(VALU_DEP_3)
	v_fmac_f32_e32 v27, 0xbf167918, v26
	v_add_f32_e32 v3, v3, v64
	scratch_store_b32 off, v41, off offset:416 ; 4-byte Folded Spill
	v_fmac_f32_e32 v18, 0x3f167918, v26
	v_fmac_f32_e32 v27, 0x3e9e377a, v7
	v_add_f32_e32 v21, v3, v72
	v_add_f32_e32 v3, v28, v19
	s_delay_alu instid0(VALU_DEP_4) | instskip(SKIP_2) | instid1(VALU_DEP_2)
	v_fmac_f32_e32 v18, 0x3e9e377a, v7
	v_mul_f32_e32 v7, 0xbf4f1bbd, v11
	v_add_f32_e32 v5, v27, v17
	v_dual_add_f32 v2, v21, v29 :: v_dual_fmac_f32 v7, 0xbf167918, v10
	ds_store_2addr_b64 v32, v[2:3], v[4:5] offset1:30
	v_add_f32_e32 v2, v40, v73
	v_dual_sub_f32 v3, v65, v73 :: v_dual_sub_f32 v4, v55, v43
	v_add_f32_e32 v5, v43, v76
	s_delay_alu instid0(VALU_DEP_3) | instskip(SKIP_1) | instid1(VALU_DEP_3)
	v_dual_sub_f32 v32, v68, v76 :: v_dual_fmac_f32 v1, -0.5, v2
	v_sub_f32_e32 v2, v52, v40
	v_dual_fmac_f32 v35, -0.5, v5 :: v_dual_lshlrev_b32 v52, 4, v30
	v_sub_f32_e32 v5, v47, v39
	v_mov_b32_e32 v47, v234
	s_delay_alu instid0(VALU_DEP_4)
	v_dual_add_f32 v2, v2, v3 :: v_dual_add_f32 v3, v4, v32
	v_sub_f32_e32 v32, v64, v72
	v_add_f32_e32 v4, v33, v37
	v_fmamk_f32 v34, v15, 0xbf737871, v35
	v_fmac_f32_e32 v35, 0x3f737871, v15
	v_add_f32_e32 v33, v39, v72
	v_add_f32_e32 v5, v5, v32
	v_fmamk_f32 v32, v13, 0x3f737871, v36
	v_fmac_f32_e32 v36, 0xbf737871, v13
	v_fmac_f32_e32 v35, 0xbf167918, v14
	v_fma_f32 v0, -0.5, v33, v0
	v_fmac_f32_e32 v34, 0x3f167918, v14
	v_fmac_f32_e32 v32, 0xbf167918, v12
	;; [unrolled: 1-line block ×4, first 2 shown]
	v_fmamk_f32 v33, v23, 0xbf737871, v0
	v_fmac_f32_e32 v0, 0x3f737871, v23
	v_fmac_f32_e32 v32, 0x3e9e377a, v4
	;; [unrolled: 1-line block ×6, first 2 shown]
	v_mul_f32_e32 v38, 0x3f737871, v32
	v_mul_f32_e32 v37, 0xbe9e377a, v36
	s_delay_alu instid0(VALU_DEP_4) | instskip(NEXT) | instid1(VALU_DEP_4)
	v_fmac_f32_e32 v33, 0x3e9e377a, v5
	v_fmac_f32_e32 v0, 0x3e9e377a, v5
	s_delay_alu instid0(VALU_DEP_4) | instskip(NEXT) | instid1(VALU_DEP_4)
	v_fmac_f32_e32 v38, 0x3e9e377a, v34
	v_fmac_f32_e32 v37, 0xbf737871, v35
	v_mul_f32_e32 v35, 0xbe9e377a, v35
	v_mul_f32_e32 v34, 0xbf737871, v34
	s_delay_alu instid0(VALU_DEP_2) | instskip(SKIP_2) | instid1(VALU_DEP_4)
	v_dual_add_f32 v4, v33, v38 :: v_dual_fmac_f32 v35, 0x3f737871, v36
	v_fmamk_f32 v36, v26, 0x3f737871, v1
	v_fmac_f32_e32 v1, 0xbf737871, v26
	v_fmac_f32_e32 v34, 0x3e9e377a, v32
	s_delay_alu instid0(VALU_DEP_3) | instskip(NEXT) | instid1(VALU_DEP_3)
	v_fmac_f32_e32 v36, 0xbf167918, v25
	v_fmac_f32_e32 v1, 0x3f167918, v25
	s_delay_alu instid0(VALU_DEP_2) | instskip(NEXT) | instid1(VALU_DEP_2)
	v_fmac_f32_e32 v36, 0x3e9e377a, v2
	v_dual_fmac_f32 v1, 0x3e9e377a, v2 :: v_dual_add_f32 v2, v0, v35
	v_sub_f32_e32 v0, v0, v35
	s_delay_alu instid0(VALU_DEP_3) | instskip(NEXT) | instid1(VALU_DEP_3)
	v_add_f32_e32 v5, v36, v34
	v_add_f32_e32 v3, v1, v37
	v_sub_f32_e32 v1, v1, v37
	ds_store_2addr_b64 v41, v[4:5], v[2:3] offset0:60 offset1:90
	v_dual_sub_f32 v2, v21, v29 :: v_dual_sub_f32 v3, v28, v19
	v_dual_add_f32 v4, v20, v6 :: v_dual_add_f32 v5, v18, v7
	v_add_nc_u32_e32 v29, 0x2c00, v179
	v_add_nc_u32_e32 v28, 0x4400, v179
	ds_store_2addr_b64 v41, v[4:5], v[2:3] offset0:120 offset1:150
	v_dual_sub_f32 v2, v24, v16 :: v_dual_sub_f32 v3, v27, v17
	v_sub_f32_e32 v4, v33, v38
	v_sub_f32_e32 v5, v36, v34
	ds_store_2addr_b64 v41, v[2:3], v[4:5] offset0:180 offset1:210
	v_dual_sub_f32 v2, v20, v6 :: v_dual_sub_f32 v3, v18, v7
	v_add_nc_u32_e32 v4, 0x400, v41
	s_clause 0x1
	scratch_store_b32 off, v178, off offset:412
	scratch_store_b32 off, v4, off offset:280
	ds_store_2addr_b64 v4, v[0:1], v[2:3] offset0:112 offset1:142
	s_waitcnt lgkmcnt(0)
	s_waitcnt_vscnt null, 0x0
	s_barrier
	v_lshlrev_b32_e32 v0, 4, v31
	buffer_gl0_inv
	global_load_b128 v[16:19], v8, s[10:11] offset:2376
	ds_load_2addr_b64 v[1:4], v235 offset0:132 offset1:222
	s_clause 0x2
	global_load_b128 v[31:34], v8, s[10:11] offset:3336
	global_load_b128 v[35:38], v52, s[10:11] offset:2376
	;; [unrolled: 1-line block ×3, first 2 shown]
	scratch_store_b32 off, v205, off offset:248 ; 4-byte Folded Spill
	s_waitcnt vmcnt(3) lgkmcnt(0)
	v_mul_f32_e32 v5, v2, v17
	scratch_store_b128 off, v[16:19], off offset:332 ; 16-byte Folded Spill
	s_waitcnt vmcnt(0)
	v_dual_mul_f32 v10, v1, v17 :: v_dual_mul_f32 v17, v3, v12
	v_fma_f32 v9, v1, v16, -v5
	v_mul_f32_e32 v1, v4, v12
	s_delay_alu instid0(VALU_DEP_3)
	v_fmac_f32_e32 v10, v2, v16
	scratch_store_b128 off, v[11:14], off offset:316 ; 16-byte Folded Spill
	v_fmac_f32_e32 v17, v4, v11
	v_fma_f32 v16, v3, v11, -v1
	ds_load_2addr_b64 v[1:4], v236 offset0:8 offset1:98
	s_waitcnt lgkmcnt(0)
	v_mul_f32_e32 v5, v2, v19
	v_dual_mul_f32 v12, v1, v19 :: v_dual_mul_f32 v19, v3, v14
	s_delay_alu instid0(VALU_DEP_2) | instskip(SKIP_1) | instid1(VALU_DEP_3)
	v_fma_f32 v11, v1, v18, -v5
	v_mul_f32_e32 v1, v4, v14
	v_dual_fmac_f32 v12, v2, v18 :: v_dual_fmac_f32 v19, v4, v13
	s_delay_alu instid0(VALU_DEP_2) | instskip(SKIP_1) | instid1(VALU_DEP_1)
	v_fma_f32 v18, v3, v13, -v1
	v_add_co_u32 v1, s2, 0xffffffe2, v205
	v_add_co_ci_u32_e64 v2, null, 0, -1, s2
	v_add_co_u32 v8, s2, s10, v8
	s_delay_alu instid0(VALU_DEP_2) | instskip(NEXT) | instid1(VALU_DEP_1)
	v_dual_cndmask_b32 v5, v1, v49 :: v_dual_cndmask_b32 v6, v2, v62
	v_lshlrev_b64 v[1:2], 4, v[5:6]
	s_delay_alu instid0(VALU_DEP_1) | instskip(NEXT) | instid1(VALU_DEP_2)
	v_add_co_u32 v6, vcc_lo, s10, v1
	v_add_co_ci_u32_e32 v7, vcc_lo, s11, v2, vcc_lo
	ds_load_2addr_b64 v[1:4], v179 offset1:90
	v_add_co_u32 v8, vcc_lo, 0x1000, v8
	s_waitcnt lgkmcnt(0)
	v_add_f32_e32 v13, v1, v9
	s_delay_alu instid0(VALU_DEP_1) | instskip(SKIP_2) | instid1(VALU_DEP_3)
	v_dual_add_f32 v15, v2, v10 :: v_dual_add_f32 v14, v13, v11
	v_sub_f32_e32 v13, v10, v12
	v_add_f32_e32 v10, v10, v12
	v_dual_add_f32 v15, v15, v12 :: v_dual_add_f32 v12, v9, v11
	s_delay_alu instid0(VALU_DEP_2) | instskip(SKIP_2) | instid1(VALU_DEP_4)
	v_fma_f32 v2, -0.5, v10, v2
	v_sub_f32_e32 v10, v9, v11
	v_lshrrev_b16 v11, 2, v58
	v_fma_f32 v1, -0.5, v12, v1
	v_add_co_ci_u32_e64 v9, null, s11, 0, s2
	s_delay_alu instid0(VALU_DEP_4)
	v_fmamk_f32 v79, v10, 0xbf5db3d7, v2
	v_fmac_f32_e32 v2, 0x3f5db3d7, v10
	v_lshrrev_b16 v10, 2, v59
	v_and_b32_e32 v11, 0xffff, v11
	v_fmamk_f32 v78, v13, 0x3f5db3d7, v1
	v_fmac_f32_e32 v1, 0xbf5db3d7, v13
	v_add_co_ci_u32_e32 v9, vcc_lo, 0, v9, vcc_lo
	v_and_b32_e32 v10, 0xffff, v10
	v_mul_u32_u24_e32 v11, 0x6d3b, v11
	v_cmp_lt_u16_e32 vcc_lo, 29, v48
	s_delay_alu instid0(VALU_DEP_3) | instskip(NEXT) | instid1(VALU_DEP_3)
	v_mul_u32_u24_e32 v10, 0x6d3b, v10
	v_lshrrev_b32_e32 v20, 21, v11
	v_lshrrev_b16 v11, 2, v50
	s_delay_alu instid0(VALU_DEP_3) | instskip(NEXT) | instid1(VALU_DEP_3)
	v_lshrrev_b32_e32 v10, 21, v10
	v_mul_lo_u16 v12, 0x12c, v20
	s_delay_alu instid0(VALU_DEP_3) | instskip(NEXT) | instid1(VALU_DEP_3)
	v_and_b32_e32 v11, 0xffff, v11
	v_mul_lo_u16 v10, 0x12c, v10
	s_delay_alu instid0(VALU_DEP_3) | instskip(NEXT) | instid1(VALU_DEP_2)
	v_sub_nc_u16 v21, v58, v12
	v_sub_nc_u16 v22, v59, v10
	s_delay_alu instid0(VALU_DEP_4) | instskip(SKIP_1) | instid1(VALU_DEP_4)
	v_mul_u32_u24_e32 v10, 0x6d3b, v11
	v_lshrrev_b16 v11, 2, v51
	v_lshlrev_b16 v12, 4, v21
	s_delay_alu instid0(VALU_DEP_4) | instskip(NEXT) | instid1(VALU_DEP_4)
	v_lshlrev_b16 v13, 4, v22
	v_lshrrev_b32_e32 v10, 21, v10
	s_delay_alu instid0(VALU_DEP_4) | instskip(NEXT) | instid1(VALU_DEP_4)
	v_and_b32_e32 v11, 0xffff, v11
	v_and_b32_e32 v12, 0xffff, v12
	s_delay_alu instid0(VALU_DEP_4) | instskip(NEXT) | instid1(VALU_DEP_4)
	v_and_b32_e32 v13, 0xffff, v13
	v_mul_lo_u16 v23, 0x12c, v10
	s_delay_alu instid0(VALU_DEP_4) | instskip(NEXT) | instid1(VALU_DEP_4)
	v_mul_u32_u24_e32 v11, 0x6d3b, v11
	v_add_co_u32 v10, s2, s10, v12
	s_delay_alu instid0(VALU_DEP_3) | instskip(NEXT) | instid1(VALU_DEP_3)
	v_sub_nc_u16 v23, v50, v23
	v_lshrrev_b32_e32 v24, 21, v11
	v_add_co_ci_u32_e64 v11, null, s11, 0, s2
	v_add_co_u32 v12, s2, s10, v13
	s_delay_alu instid0(VALU_DEP_3) | instskip(SKIP_1) | instid1(VALU_DEP_2)
	v_mul_lo_u16 v24, 0x12c, v24
	v_add_co_ci_u32_e64 v13, null, s11, 0, s2
	v_sub_nc_u16 v57, v51, v24
	v_lshlrev_b16 v24, 4, v23
	s_delay_alu instid0(VALU_DEP_2) | instskip(NEXT) | instid1(VALU_DEP_2)
	v_lshlrev_b16 v25, 4, v57
	v_and_b32_e32 v24, 0xffff, v24
	s_delay_alu instid0(VALU_DEP_2) | instskip(NEXT) | instid1(VALU_DEP_2)
	v_and_b32_e32 v26, 0xffff, v25
	v_add_co_u32 v24, s2, s10, v24
	s_delay_alu instid0(VALU_DEP_1) | instskip(NEXT) | instid1(VALU_DEP_3)
	v_add_co_ci_u32_e64 v25, null, s11, 0, s2
	v_add_co_u32 v26, s2, s10, v26
	s_delay_alu instid0(VALU_DEP_1)
	v_add_co_ci_u32_e64 v27, null, s11, 0, s2
	s_clause 0x5
	global_load_b128 v[199:202], v[6:7], off offset:2376
	global_load_b128 v[239:242], v[10:11], off offset:2376
	;; [unrolled: 1-line block ×6, first 2 shown]
	ds_load_2addr_b64 v[10:13], v244 offset0:52 offset1:142
	ds_load_2addr_b64 v[53:56], v243 offset0:56 offset1:146
	;; [unrolled: 1-line block ×4, first 2 shown]
	v_mov_b32_e32 v25, v207
	ds_load_2addr_b64 v[70:73], v207 offset0:108 offset1:198
	ds_load_2addr_b64 v[74:77], v232 offset0:112 offset1:202
	;; [unrolled: 1-line block ×5, first 2 shown]
	v_mov_b32_e32 v26, v208
	ds_load_2addr_b64 v[207:210], v208 offset0:80 offset1:170
	ds_load_2addr_b64 v[211:214], v189 offset0:84 offset1:174
	;; [unrolled: 1-line block ×3, first 2 shown]
	s_waitcnt vmcnt(0) lgkmcnt(0)
	s_waitcnt_vscnt null, 0x0
	s_barrier
	buffer_gl0_inv
	ds_store_b64 v179, v[78:79] offset:2400
	ds_store_b64 v179, v[1:2] offset:4800
	v_dual_add_f32 v1, v3, v16 :: v_dual_add_f32 v2, v4, v17
	v_mov_b32_e32 v27, v26
	scratch_store_b128 off, v[31:34], off offset:364 ; 16-byte Folded Spill
	v_dual_add_f32 v1, v1, v18 :: v_dual_add_f32 v2, v2, v19
	v_dual_mul_f32 v6, v53, v36 :: v_dual_mul_f32 v7, v62, v38
	ds_store_2addr_b64 v179, v[14:15], v[1:2] offset1:90
	v_mul_f32_e32 v1, v54, v36
	v_dual_fmac_f32 v6, v54, v35 :: v_dual_fmac_f32 v7, v63, v37
	s_delay_alu instid0(VALU_DEP_2) | instskip(SKIP_1) | instid1(VALU_DEP_3)
	v_fma_f32 v14, v53, v35, -v1
	v_mul_f32_e32 v1, v63, v38
	v_add_f32_e32 v2, v11, v6
	s_delay_alu instid0(VALU_DEP_2) | instskip(NEXT) | instid1(VALU_DEP_4)
	v_fma_f32 v15, v62, v37, -v1
	v_add_f32_e32 v1, v10, v14
	s_delay_alu instid0(VALU_DEP_3) | instskip(NEXT) | instid1(VALU_DEP_2)
	v_add_f32_e32 v2, v2, v7
	v_add_f32_e32 v1, v1, v15
	ds_store_b64 v179, v[1:2] offset:1440
	v_dual_add_f32 v1, v16, v18 :: v_dual_sub_f32 v2, v17, v19
	v_dual_add_f32 v17, v17, v19 :: v_dual_sub_f32 v16, v16, v18
	v_mul_f32_e32 v18, v75, v34
	s_delay_alu instid0(VALU_DEP_3) | instskip(NEXT) | instid1(VALU_DEP_3)
	v_fma_f32 v3, -0.5, v1, v3
	v_dual_mul_f32 v19, v74, v34 :: v_dual_fmac_f32 v4, -0.5, v17
	v_sub_f32_e32 v17, v6, v7
	s_delay_alu instid0(VALU_DEP_4) | instskip(NEXT) | instid1(VALU_DEP_4)
	v_fma_f32 v18, v74, v33, -v18
	v_fmamk_f32 v1, v2, 0x3f5db3d7, v3
	v_dual_fmac_f32 v3, 0xbf5db3d7, v2 :: v_dual_add_f32 v2, v6, v7
	v_add_f32_e32 v6, v14, v15
	v_sub_f32_e32 v14, v14, v15
	v_mul_f32_e32 v15, v70, v32
	v_fmac_f32_e32 v19, v75, v33
	v_fma_f32 v7, -0.5, v2, v11
	v_fma_f32 v6, -0.5, v6, v10
	v_fmamk_f32 v2, v16, 0xbf5db3d7, v4
	v_dual_fmac_f32 v4, 0x3f5db3d7, v16 :: v_dual_fmac_f32 v15, v71, v31
	s_delay_alu instid0(VALU_DEP_4) | instskip(NEXT) | instid1(VALU_DEP_4)
	v_fmamk_f32 v11, v14, 0xbf5db3d7, v7
	v_fmamk_f32 v10, v17, 0x3f5db3d7, v6
	v_fmac_f32_e32 v6, 0xbf5db3d7, v17
	v_dual_fmac_f32 v7, 0x3f5db3d7, v14 :: v_dual_mul_f32 v14, v71, v32
	v_mov_b32_e32 v32, v25
	ds_store_2addr_b64 v233, v[1:2], v[10:11] offset0:134 offset1:224
	v_cndmask_b32_e64 v1, 0, 0x384, vcc_lo
	ds_store_2addr_b64 v26, v[3:4], v[6:7] offset0:50 offset1:140
	v_mov_b32_e32 v26, v220
	v_fma_f32 v14, v70, v31, -v14
	v_mov_b32_e32 v33, v185
	v_add_lshl_u32 v11, v5, v1, 3
	scratch_store_b128 off, v[35:38], off offset:348 ; 16-byte Folded Spill
	v_mov_b32_e32 v35, v235
	scratch_store_b32 off, v11, off offset:264 ; 4-byte Folded Spill
	v_mov_b32_e32 v255, v35
	v_dual_mul_f32 v3, v56, v200 :: v_dual_mul_f32 v6, v65, v202
	v_dual_mul_f32 v4, v55, v200 :: v_dual_mul_f32 v7, v64, v202
	v_mul_f32_e32 v62, v197, v252
	s_delay_alu instid0(VALU_DEP_3) | instskip(NEXT) | instid1(VALU_DEP_4)
	v_fma_f32 v3, v55, v199, -v3
	v_fma_f32 v6, v64, v201, -v6
	s_delay_alu instid0(VALU_DEP_4) | instskip(NEXT) | instid1(VALU_DEP_3)
	v_dual_fmac_f32 v4, v56, v199 :: v_dual_fmac_f32 v7, v65, v201
	v_dual_mul_f32 v16, v73, v204 :: v_dual_add_f32 v5, v12, v3
	s_delay_alu instid0(VALU_DEP_2) | instskip(NEXT) | instid1(VALU_DEP_3)
	v_dual_add_f32 v1, v3, v6 :: v_dual_add_f32 v2, v13, v4
	v_dual_sub_f32 v10, v4, v7 :: v_dual_mul_f32 v53, v77, v206
	s_delay_alu instid0(VALU_DEP_3) | instskip(NEXT) | instid1(VALU_DEP_3)
	v_fma_f32 v16, v72, v203, -v16
	v_fma_f32 v12, -0.5, v1, v12
	v_add_f32_e32 v1, v4, v7
	v_dual_add_f32 v2, v2, v7 :: v_dual_mul_f32 v17, v72, v204
	v_fma_f32 v53, v76, v205, -v53
	s_delay_alu instid0(VALU_DEP_3)
	v_dual_mul_f32 v54, v76, v206 :: v_dual_fmac_f32 v13, -0.5, v1
	v_add_f32_e32 v1, v5, v6
	v_sub_f32_e32 v5, v3, v6
	v_fmamk_f32 v3, v10, 0x3f5db3d7, v12
	v_dual_fmac_f32 v12, 0xbf5db3d7, v10 :: v_dual_fmac_f32 v17, v73, v203
	ds_store_b64 v11, v[1:2]
	v_dual_add_f32 v1, v14, v18 :: v_dual_fmamk_f32 v4, v5, 0xbf5db3d7, v13
	v_dual_fmac_f32 v13, 0x3f5db3d7, v5 :: v_dual_sub_f32 v2, v15, v19
	ds_store_b64 v11, v[12:13] offset:4800
	ds_store_b64 v11, v[3:4] offset:2400
	v_fma_f32 v1, -0.5, v1, v66
	v_dual_sub_f32 v5, v14, v18 :: v_dual_fmac_f32 v54, v77, v205
	v_add_f32_e32 v7, v68, v16
	v_add_f32_e32 v11, v69, v17
	s_delay_alu instid0(VALU_DEP_4) | instskip(SKIP_4) | instid1(VALU_DEP_4)
	v_fmamk_f32 v3, v2, 0x3f5db3d7, v1
	v_dual_fmac_f32 v1, 0xbf5db3d7, v2 :: v_dual_add_f32 v2, v15, v19
	v_sub_f32_e32 v6, v17, v54
	v_dual_sub_f32 v10, v16, v53 :: v_dual_mul_f32 v55, v195, v240
	v_mul_f32_e32 v56, v194, v240
	v_fma_f32 v2, -0.5, v2, v67
	v_mul_f32_e32 v64, v191, v242
	v_mul_f32_e32 v65, v190, v242
	v_add_f32_e32 v11, v11, v54
	v_fma_f32 v55, v194, v239, -v55
	v_fmamk_f32 v4, v5, 0xbf5db3d7, v2
	v_fmac_f32_e32 v2, 0x3f5db3d7, v5
	v_dual_add_f32 v5, v16, v53 :: v_dual_fmac_f32 v56, v195, v239
	v_fma_f32 v64, v190, v241, -v64
	v_fmac_f32_e32 v65, v191, v241
	s_clause 0x1
	scratch_store_b128 off, v[43:46], off offset:428
	scratch_store_b128 off, v[39:42], off offset:380
	v_fma_f32 v68, -0.5, v5, v68
	v_mul_f32_e32 v70, v193, v254
	v_fma_f32 v62, v196, v251, -v62
	v_mul_f32_e32 v63, v196, v252
	v_mul_f32_e32 v71, v192, v254
	v_fmamk_f32 v5, v6, 0x3f5db3d7, v68
	v_fmac_f32_e32 v68, 0xbf5db3d7, v6
	v_add_f32_e32 v6, v17, v54
	v_fma_f32 v70, v192, v253, -v70
	v_fmac_f32_e32 v63, v197, v251
	v_dual_fmac_f32 v71, v193, v253 :: v_dual_mul_f32 v72, v212, v44
	s_delay_alu instid0(VALU_DEP_4) | instskip(SKIP_2) | instid1(VALU_DEP_4)
	v_fmac_f32_e32 v69, -0.5, v6
	v_mul_f32_e32 v73, v211, v44
	v_dual_mul_f32 v13, v215, v46 :: v_dual_mul_f32 v74, v214, v40
	v_fma_f32 v72, v211, v43, -v72
	s_delay_alu instid0(VALU_DEP_4)
	v_fmamk_f32 v6, v10, 0xbf5db3d7, v69
	v_fmac_f32_e32 v69, 0x3f5db3d7, v10
	v_mul_f32_e32 v10, v216, v46
	v_fmac_f32_e32 v73, v212, v43
	v_fmac_f32_e32 v13, v216, v45
	v_fma_f32 v74, v213, v39, -v74
	ds_store_2addr_b64 v189, v[1:2], v[68:69] offset0:24 offset1:114
	v_dual_add_f32 v1, v66, v14 :: v_dual_add_f32 v2, v67, v15
	v_fma_f32 v12, v215, v45, -v10
	v_dual_mul_f32 v10, v218, v42 :: v_dual_mul_f32 v75, v213, v40
	s_delay_alu instid0(VALU_DEP_3) | instskip(SKIP_1) | instid1(VALU_DEP_3)
	v_dual_add_f32 v1, v1, v18 :: v_dual_add_f32 v2, v2, v19
	v_mul_f32_e32 v15, v217, v42
	v_fma_f32 v14, v217, v41, -v10
	v_add_f32_e32 v10, v7, v53
	ds_store_2addr_b64 v220, v[1:2], v[10:11] offset0:64 offset1:154
	ds_store_2addr_b64 v25, v[3:4], v[5:6] offset0:108 offset1:198
	v_mad_u16 v5, 0x384, v20, v21
	v_dual_add_f32 v1, v181, v55 :: v_dual_add_f32 v2, v182, v56
	v_dual_add_f32 v4, v56, v65 :: v_dual_add_f32 v3, v55, v64
	s_delay_alu instid0(VALU_DEP_3) | instskip(NEXT) | instid1(VALU_DEP_3)
	v_and_b32_e32 v5, 0xffff, v5
	v_dual_add_f32 v1, v1, v64 :: v_dual_add_f32 v2, v2, v65
	v_sub_f32_e32 v7, v56, v65
	s_delay_alu instid0(VALU_DEP_4) | instskip(SKIP_3) | instid1(VALU_DEP_4)
	v_fma_f32 v3, -0.5, v3, v181
	v_fma_f32 v4, -0.5, v4, v182
	v_dual_sub_f32 v10, v55, v64 :: v_dual_lshlrev_b32 v11, 3, v5
	v_fmac_f32_e32 v75, v214, v39
	v_fmamk_f32 v5, v7, 0x3f5db3d7, v3
	s_delay_alu instid0(VALU_DEP_3)
	v_dual_fmac_f32 v3, 0xbf5db3d7, v7 :: v_dual_fmamk_f32 v6, v10, 0xbf5db3d7, v4
	ds_store_b64 v11, v[1:2]
	v_add_f32_e32 v1, v62, v70
	v_fmac_f32_e32 v4, 0x3f5db3d7, v10
	scratch_store_b32 off, v11, off offset:276 ; 4-byte Folded Spill
	ds_store_b64 v11, v[5:6] offset:2400
	ds_store_b64 v11, v[3:4] offset:4800
	v_add_f32_e32 v3, v183, v62
	v_fma_f32 v183, -0.5, v1, v183
	v_add_f32_e32 v1, v63, v71
	v_add_f32_e32 v2, v184, v63
	v_dual_sub_f32 v5, v63, v71 :: v_dual_sub_f32 v6, v62, v70
	v_fmac_f32_e32 v15, v218, v41
	s_delay_alu instid0(VALU_DEP_4) | instskip(NEXT) | instid1(VALU_DEP_4)
	v_dual_fmac_f32 v184, -0.5, v1 :: v_dual_add_f32 v1, v3, v70
	v_dual_add_f32 v2, v2, v71 :: v_dual_and_b32 v3, 0xffff, v22
	v_mov_b32_e32 v44, v224
	s_delay_alu instid0(VALU_DEP_3) | instskip(NEXT) | instid1(VALU_DEP_3)
	v_fmamk_f32 v4, v6, 0xbf5db3d7, v184
	v_dual_fmac_f32 v184, 0x3f5db3d7, v6 :: v_dual_lshlrev_b32 v7, 3, v3
	v_fmamk_f32 v3, v5, 0x3f5db3d7, v183
	v_fmac_f32_e32 v183, 0xbf5db3d7, v5
	v_and_b32_e32 v5, 0xffff, v23
	v_add_f32_e32 v6, v210, v75
	ds_store_b64 v7, v[1:2] offset:14400
	v_dual_add_f32 v1, v207, v72 :: v_dual_add_f32 v2, v208, v73
	v_lshlrev_b32_e32 v5, 3, v5
	scratch_store_b32 off, v7, off offset:288 ; 4-byte Folded Spill
	v_dual_add_f32 v6, v6, v15 :: v_dual_add_f32 v1, v1, v12
	v_add_f32_e32 v2, v2, v13
	ds_store_b64 v7, v[183:184] offset:19200
	ds_store_b64 v5, v[1:2] offset:14400
	v_dual_add_f32 v2, v73, v13 :: v_dual_add_f32 v1, v72, v12
	v_mov_b32_e32 v11, v5
	ds_store_b64 v7, v[3:4] offset:16800
	v_sub_f32_e32 v4, v73, v13
	v_fma_f32 v2, -0.5, v2, v208
	v_fma_f32 v1, -0.5, v1, v207
	v_sub_f32_e32 v5, v72, v12
	v_and_b32_e32 v7, 0xffff, v57
	v_mov_b32_e32 v45, v27
	s_delay_alu instid0(VALU_DEP_4) | instskip(NEXT) | instid1(VALU_DEP_4)
	v_fmamk_f32 v3, v4, 0x3f5db3d7, v1
	v_dual_fmac_f32 v1, 0xbf5db3d7, v4 :: v_dual_fmamk_f32 v4, v5, 0xbf5db3d7, v2
	v_dual_fmac_f32 v2, 0x3f5db3d7, v5 :: v_dual_add_f32 v5, v209, v74
	v_dual_sub_f32 v7, v74, v14 :: v_dual_lshlrev_b32 v10, 3, v7
	v_add_co_u32 v0, s2, s10, v0
	ds_store_b64 v11, v[1:2] offset:19200
	v_dual_add_f32 v1, v74, v14 :: v_dual_sub_f32 v2, v75, v15
	v_add_f32_e32 v5, v5, v14
	s_clause 0x1
	scratch_store_b32 off, v11, off offset:308
	scratch_store_b32 off, v10, off offset:284
	v_fma_f32 v209, -0.5, v1, v209
	v_add_f32_e32 v1, v75, v15
	v_add_co_u32 v0, vcc_lo, 0x1000, v0
	s_delay_alu instid0(VALU_DEP_2) | instskip(NEXT) | instid1(VALU_DEP_1)
	v_dual_fmac_f32 v210, -0.5, v1 :: v_dual_fmamk_f32 v1, v2, 0x3f5db3d7, v209
	v_dual_fmac_f32 v209, 0xbf5db3d7, v2 :: v_dual_fmamk_f32 v2, v7, 0xbf5db3d7, v210
	v_fmac_f32_e32 v210, 0x3f5db3d7, v7
	ds_store_b64 v10, v[209:210] offset:19200
	ds_store_b64 v11, v[3:4] offset:16800
	;; [unrolled: 1-line block ×4, first 2 shown]
	v_add_co_ci_u32_e64 v1, null, s11, 0, s2
	s_waitcnt lgkmcnt(0)
	s_waitcnt_vscnt null, 0x0
	s_barrier
	buffer_gl0_inv
	v_add_co_ci_u32_e32 v1, vcc_lo, 0, v1, vcc_lo
	s_clause 0x1
	global_load_b128 v[181:184], v[8:9], off offset:3080
	global_load_b128 v[6:9], v[0:1], off offset:3080
	ds_load_2addr_b64 v[0:3], v235 offset0:132 offset1:222
	s_waitcnt vmcnt(1) lgkmcnt(0)
	v_mul_f32_e32 v4, v1, v182
	v_mul_f32_e32 v5, v0, v182
	s_waitcnt vmcnt(0)
	v_mul_f32_e32 v13, v2, v7
	scratch_store_b128 off, v[6:9], off offset:292 ; 16-byte Folded Spill
	v_fma_f32 v4, v0, v181, -v4
	v_dual_mul_f32 v0, v3, v7 :: v_dual_fmac_f32 v5, v1, v181
	v_fmac_f32_e32 v13, v3, v6
	s_delay_alu instid0(VALU_DEP_2)
	v_fma_f32 v12, v2, v6, -v0
	ds_load_2addr_b64 v[0:3], v236 offset0:8 offset1:98
	s_waitcnt lgkmcnt(0)
	v_mul_f32_e32 v6, v1, v184
	v_mul_f32_e32 v7, v0, v184
	;; [unrolled: 1-line block ×3, first 2 shown]
	s_delay_alu instid0(VALU_DEP_3) | instskip(NEXT) | instid1(VALU_DEP_3)
	v_fma_f32 v6, v0, v183, -v6
	v_dual_mul_f32 v0, v3, v9 :: v_dual_fmac_f32 v7, v1, v183
	s_delay_alu instid0(VALU_DEP_3) | instskip(NEXT) | instid1(VALU_DEP_2)
	v_fmac_f32_e32 v15, v3, v8
	v_fma_f32 v14, v2, v8, -v0
	ds_load_2addr_b64 v[0:3], v179 offset1:90
	s_waitcnt lgkmcnt(0)
	v_dual_add_f32 v8, v0, v4 :: v_dual_add_f32 v9, v1, v5
	s_delay_alu instid0(VALU_DEP_1) | instskip(SKIP_4) | instid1(VALU_DEP_3)
	v_dual_add_f32 v53, v8, v6 :: v_dual_add_f32 v54, v9, v7
	v_sub_f32_e32 v8, v5, v7
	v_add_f32_e32 v5, v5, v7
	v_add_f32_e32 v7, v4, v6
	v_sub_f32_e32 v6, v4, v6
	v_fma_f32 v1, -0.5, v5, v1
	s_delay_alu instid0(VALU_DEP_3) | instskip(NEXT) | instid1(VALU_DEP_2)
	v_fma_f32 v0, -0.5, v7, v0
	v_fmamk_f32 v5, v6, 0xbf5db3d7, v1
	s_delay_alu instid0(VALU_DEP_2)
	v_fmamk_f32 v4, v8, 0x3f5db3d7, v0
	v_fmac_f32_e32 v0, 0xbf5db3d7, v8
	v_fmac_f32_e32 v1, 0x3f5db3d7, v6
	ds_store_b64 v179, v[4:5] offset:7200
	ds_store_b64 v179, v[0:1] offset:14400
	v_dual_add_f32 v0, v2, v12 :: v_dual_add_f32 v1, v3, v13
	ds_load_2addr_b64 v[4:7], v244 offset0:52 offset1:142
	ds_load_2addr_b64 v[8:11], v243 offset0:56 offset1:146
	;; [unrolled: 1-line block ×7, first 2 shown]
	v_mov_b32_e32 v25, v222
	ds_load_2addr_b64 v[211:214], v222 offset0:160 offset1:250
	v_dual_add_f32 v0, v0, v14 :: v_dual_add_f32 v1, v1, v15
	ds_load_2addr_b64 v[215:218], v224 offset0:36 offset1:126
	ds_load_2addr_b64 v[219:222], v27 offset0:80 offset1:170
	;; [unrolled: 1-line block ×4, first 2 shown]
	v_mov_b32_e32 v46, v25
	ds_store_2addr_b64 v179, v[53:54], v[0:1] offset1:90
	v_add_f32_e32 v0, v12, v14
	v_sub_f32_e32 v12, v12, v14
	s_delay_alu instid0(VALU_DEP_2) | instskip(SKIP_2) | instid1(VALU_DEP_2)
	v_fma_f32 v2, -0.5, v0, v2
	v_add_f32_e32 v0, v13, v15
	v_sub_f32_e32 v13, v13, v15
	v_fmac_f32_e32 v3, -0.5, v0
	v_add_co_u32 v0, s2, s10, v52
	s_delay_alu instid0(VALU_DEP_1) | instskip(NEXT) | instid1(VALU_DEP_3)
	v_add_co_ci_u32_e64 v1, null, s11, 0, s2
	v_fmamk_f32 v178, v12, 0xbf5db3d7, v3
	v_dual_fmac_f32 v3, 0x3f5db3d7, v12 :: v_dual_lshlrev_b32 v12, 4, v49
	s_delay_alu instid0(VALU_DEP_4) | instskip(SKIP_2) | instid1(VALU_DEP_4)
	v_add_co_u32 v0, vcc_lo, 0x1000, v0
	v_fmamk_f32 v177, v13, 0x3f5db3d7, v2
	v_fmac_f32_e32 v2, 0xbf5db3d7, v13
	v_add_co_u32 v12, s2, s10, v12
	s_delay_alu instid0(VALU_DEP_1) | instskip(SKIP_1) | instid1(VALU_DEP_3)
	v_add_co_ci_u32_e64 v13, null, s11, 0, s2
	v_add_co_ci_u32_e32 v1, vcc_lo, 0, v1, vcc_lo
	v_add_co_u32 v48, vcc_lo, 0x1000, v12
	s_delay_alu instid0(VALU_DEP_3)
	v_add_co_ci_u32_e32 v49, vcc_lo, 0, v13, vcc_lo
	s_clause 0x1
	global_load_b128 v[72:75], v[0:1], off offset:3080
	global_load_b128 v[52:55], v[48:49], off offset:3080
	s_waitcnt vmcnt(1) lgkmcnt(11)
	v_mul_f32_e32 v0, v9, v73
	v_mul_f32_e32 v13, v8, v73
	s_waitcnt lgkmcnt(10)
	v_mul_f32_e32 v15, v62, v75
	s_waitcnt vmcnt(0)
	v_mul_f32_e32 v18, v64, v55
	v_fma_f32 v12, v8, v72, -v0
	v_dual_mul_f32 v0, v63, v75 :: v_dual_fmac_f32 v13, v9, v72
	v_fmac_f32_e32 v15, v63, v74
	s_delay_alu instid0(VALU_DEP_4) | instskip(NEXT) | instid1(VALU_DEP_3)
	v_fmac_f32_e32 v18, v65, v54
	v_fma_f32 v14, v62, v74, -v0
	s_delay_alu instid0(VALU_DEP_1) | instskip(SKIP_2) | instid1(VALU_DEP_3)
	v_dual_sub_f32 v1, v13, v15 :: v_dual_add_f32 v0, v12, v14
	v_sub_f32_e32 v16, v12, v14
	v_add_f32_e32 v12, v4, v12
	v_fma_f32 v0, -0.5, v0, v4
	s_delay_alu instid0(VALU_DEP_1) | instskip(SKIP_2) | instid1(VALU_DEP_2)
	v_fmamk_f32 v8, v1, 0x3f5db3d7, v0
	v_dual_fmac_f32 v0, 0xbf5db3d7, v1 :: v_dual_add_f32 v1, v13, v15
	v_add_f32_e32 v13, v5, v13
	v_fma_f32 v1, -0.5, v1, v5
	s_delay_alu instid0(VALU_DEP_1) | instskip(SKIP_4) | instid1(VALU_DEP_2)
	v_fmamk_f32 v9, v16, 0xbf5db3d7, v1
	v_fmac_f32_e32 v1, 0x3f5db3d7, v16
	ds_store_2addr_b64 v236, v[2:3], v[0:1] offset0:98 offset1:188
	v_mul_f32_e32 v0, v11, v53
	v_lshlrev_b32_e32 v2, 4, v61
	v_fma_f32 v16, v10, v52, -v0
	v_mul_f32_e32 v0, v65, v55
	v_mul_f32_e32 v10, v10, v53
	s_delay_alu instid0(VALU_DEP_2) | instskip(SKIP_1) | instid1(VALU_DEP_3)
	v_fma_f32 v17, v64, v54, -v0
	v_lshlrev_b32_e32 v0, 4, v60
	v_fmac_f32_e32 v10, v11, v52
	s_delay_alu instid0(VALU_DEP_2) | instskip(NEXT) | instid1(VALU_DEP_1)
	v_add_co_u32 v0, s2, s10, v0
	v_add_co_ci_u32_e64 v1, null, s11, 0, s2
	v_add_co_u32 v2, s2, s10, v2
	s_delay_alu instid0(VALU_DEP_3) | instskip(SKIP_1) | instid1(VALU_DEP_4)
	v_add_co_u32 v0, vcc_lo, 0x1000, v0
	v_add_co_ci_u32_e64 v3, null, s11, 0, s2
	v_add_co_ci_u32_e32 v1, vcc_lo, 0, v1, vcc_lo
	s_delay_alu instid0(VALU_DEP_4) | instskip(NEXT) | instid1(VALU_DEP_3)
	v_add_co_u32 v2, vcc_lo, 0x1000, v2
	v_add_co_ci_u32_e32 v3, vcc_lo, 0, v3, vcc_lo
	s_clause 0x1
	global_load_b128 v[76:79], v[0:1], off offset:3080
	global_load_b128 v[60:63], v[2:3], off offset:3080
	v_lshlrev_b32_e32 v2, 4, v59
	s_waitcnt vmcnt(1) lgkmcnt(9)
	v_mul_f32_e32 v0, v67, v77
	s_waitcnt vmcnt(0)
	v_mul_f32_e32 v22, v68, v61
	s_waitcnt lgkmcnt(8)
	v_mul_f32_e32 v186, v194, v79
	v_mul_f32_e32 v20, v66, v77
	v_fma_f32 v19, v66, v76, -v0
	v_mul_f32_e32 v0, v69, v61
	v_fmac_f32_e32 v22, v69, v60
	v_fmac_f32_e32 v186, v195, v78
	;; [unrolled: 1-line block ×3, first 2 shown]
	s_delay_alu instid0(VALU_DEP_4) | instskip(SKIP_1) | instid1(VALU_DEP_1)
	v_fma_f32 v21, v68, v60, -v0
	v_mul_f32_e32 v0, v195, v79
	v_fma_f32 v23, v194, v78, -v0
	v_mul_f32_e32 v0, v197, v63
	v_mul_f32_e32 v194, v196, v63
	s_delay_alu instid0(VALU_DEP_2) | instskip(SKIP_1) | instid1(VALU_DEP_3)
	v_fma_f32 v188, v196, v62, -v0
	v_lshlrev_b32_e32 v0, 4, v58
	v_fmac_f32_e32 v194, v197, v62
	s_delay_alu instid0(VALU_DEP_3) | instskip(NEXT) | instid1(VALU_DEP_3)
	v_sub_f32_e32 v4, v21, v188
	v_add_co_u32 v0, s2, s10, v0
	s_delay_alu instid0(VALU_DEP_1) | instskip(SKIP_1) | instid1(VALU_DEP_3)
	v_add_co_ci_u32_e64 v1, null, s11, 0, s2
	v_add_co_u32 v2, s2, s10, v2
	v_add_co_u32 v0, vcc_lo, 0x1000, v0
	v_add_co_ci_u32_e64 v3, null, s11, 0, s2
	s_delay_alu instid0(VALU_DEP_4) | instskip(NEXT) | instid1(VALU_DEP_4)
	v_add_co_ci_u32_e32 v1, vcc_lo, 0, v1, vcc_lo
	v_add_co_u32 v2, vcc_lo, 0x1000, v2
	s_delay_alu instid0(VALU_DEP_3)
	v_add_co_ci_u32_e32 v3, vcc_lo, 0, v3, vcc_lo
	s_clause 0x1
	global_load_b128 v[68:71], v[0:1], off offset:3080
	global_load_b128 v[56:59], v[2:3], off offset:3080
	v_lshlrev_b32_e32 v2, 4, v51
	s_waitcnt vmcnt(1) lgkmcnt(6)
	v_mul_f32_e32 v0, v212, v69
	v_mul_f32_e32 v196, v211, v69
	s_waitcnt vmcnt(0)
	v_mul_f32_e32 v198, v213, v57
	s_delay_alu instid0(VALU_DEP_3)
	v_fma_f32 v195, v211, v68, -v0
	v_mul_f32_e32 v0, v214, v57
	v_fmac_f32_e32 v196, v212, v68
	s_waitcnt lgkmcnt(5)
	v_mul_f32_e32 v212, v215, v71
	v_fmac_f32_e32 v198, v214, v56
	v_mul_f32_e32 v214, v217, v59
	v_fma_f32 v197, v213, v56, -v0
	v_mul_f32_e32 v0, v216, v71
	v_fmac_f32_e32 v212, v216, v70
	s_delay_alu instid0(VALU_DEP_4) | instskip(NEXT) | instid1(VALU_DEP_3)
	v_fmac_f32_e32 v214, v218, v58
	v_fma_f32 v211, v215, v70, -v0
	s_delay_alu instid0(VALU_DEP_3) | instskip(NEXT) | instid1(VALU_DEP_1)
	v_dual_mul_f32 v0, v218, v59 :: v_dual_sub_f32 v5, v196, v212
	v_fma_f32 v213, v217, v58, -v0
	v_lshlrev_b32_e32 v0, 4, v50
	s_delay_alu instid0(VALU_DEP_1) | instskip(NEXT) | instid1(VALU_DEP_1)
	v_add_co_u32 v0, s2, s10, v0
	v_add_co_ci_u32_e64 v1, null, s11, 0, s2
	v_add_co_u32 v2, s2, s10, v2
	s_delay_alu instid0(VALU_DEP_3) | instskip(SKIP_1) | instid1(VALU_DEP_4)
	v_add_co_u32 v0, vcc_lo, 0x1000, v0
	v_add_co_ci_u32_e64 v3, null, s11, 0, s2
	v_add_co_ci_u32_e32 v1, vcc_lo, 0, v1, vcc_lo
	s_delay_alu instid0(VALU_DEP_4) | instskip(NEXT) | instid1(VALU_DEP_3)
	v_add_co_u32 v2, vcc_lo, 0x1000, v2
	v_add_co_ci_u32_e32 v3, vcc_lo, 0, v3, vcc_lo
	s_clause 0x1
	global_load_b128 v[64:67], v[0:1], off offset:3080
	global_load_b128 v[48:51], v[2:3], off offset:3080
	v_dual_sub_f32 v1, v10, v18 :: v_dual_sub_f32 v2, v16, v17
	v_sub_f32_e32 v3, v20, v186
	ds_store_2addr_b64 v26, v[177:178], v[8:9] offset0:94 offset1:184
	v_dual_add_f32 v8, v12, v14 :: v_dual_add_f32 v9, v13, v15
	s_mul_i32 s2, s5, 0x1c20
	s_delay_alu instid0(SALU_CYCLE_1)
	s_add_i32 s2, s3, s2
	s_mul_i32 s3, s4, 0x1c20
	s_waitcnt vmcnt(1) lgkmcnt(4)
	v_mul_f32_e32 v0, v224, v65
	v_mul_f32_e32 v216, v223, v65
	s_waitcnt vmcnt(0)
	v_mul_f32_e32 v218, v225, v49
	s_delay_alu instid0(VALU_DEP_3)
	v_fma_f32 v215, v223, v64, -v0
	v_mul_f32_e32 v0, v226, v49
	v_fmac_f32_e32 v216, v224, v64
	s_waitcnt lgkmcnt(3)
	v_mul_f32_e32 v224, v227, v67
	v_fmac_f32_e32 v218, v226, v48
	v_mul_f32_e32 v226, v229, v51
	v_fma_f32 v217, v225, v48, -v0
	v_mul_f32_e32 v0, v228, v67
	v_fmac_f32_e32 v224, v228, v66
	v_add_f32_e32 v228, v7, v10
	v_fmac_f32_e32 v226, v230, v50
	s_delay_alu instid0(VALU_DEP_4) | instskip(SKIP_1) | instid1(VALU_DEP_4)
	v_fma_f32 v223, v227, v66, -v0
	v_mul_f32_e32 v0, v230, v51
	v_dual_add_f32 v227, v6, v16 :: v_dual_add_f32 v178, v228, v18
	s_delay_alu instid0(VALU_DEP_2) | instskip(SKIP_2) | instid1(VALU_DEP_4)
	v_fma_f32 v225, v229, v50, -v0
	v_add_f32_e32 v0, v16, v17
	v_sub_f32_e32 v16, v19, v23
	v_add_f32_e32 v177, v227, v17
	s_delay_alu instid0(VALU_DEP_3) | instskip(NEXT) | instid1(VALU_DEP_1)
	v_fma_f32 v6, -0.5, v0, v6
	v_fmamk_f32 v0, v1, 0x3f5db3d7, v6
	v_dual_fmac_f32 v6, 0xbf5db3d7, v1 :: v_dual_add_f32 v1, v10, v18
	s_delay_alu instid0(VALU_DEP_1) | instskip(NEXT) | instid1(VALU_DEP_1)
	v_fmac_f32_e32 v7, -0.5, v1
	v_fmamk_f32 v1, v2, 0xbf5db3d7, v7
	v_dual_fmac_f32 v7, 0x3f5db3d7, v2 :: v_dual_add_f32 v2, v19, v23
	v_add_f32_e32 v19, v190, v19
	s_delay_alu instid0(VALU_DEP_2) | instskip(SKIP_1) | instid1(VALU_DEP_2)
	v_fma_f32 v2, -0.5, v2, v190
	v_sub_f32_e32 v190, v197, v213
	v_fmamk_f32 v10, v3, 0x3f5db3d7, v2
	v_dual_fmac_f32 v2, 0xbf5db3d7, v3 :: v_dual_add_f32 v3, v20, v186
	v_add_f32_e32 v20, v191, v20
	s_delay_alu instid0(VALU_DEP_2) | instskip(SKIP_1) | instid1(VALU_DEP_2)
	v_fma_f32 v3, -0.5, v3, v191
	v_sub_f32_e32 v191, v216, v224
	v_fmamk_f32 v11, v16, 0xbf5db3d7, v3
	v_dual_fmac_f32 v3, 0x3f5db3d7, v16 :: v_dual_add_f32 v16, v192, v21
	ds_store_2addr_b64 v232, v[6:7], v[2:3] offset0:22 offset1:112
	v_dual_add_f32 v2, v21, v188 :: v_dual_sub_f32 v3, v22, v194
	v_sub_f32_e32 v21, v195, v211
	s_delay_alu instid0(VALU_DEP_2) | instskip(NEXT) | instid1(VALU_DEP_1)
	v_fma_f32 v192, -0.5, v2, v192
	v_fmamk_f32 v2, v3, 0x3f5db3d7, v192
	v_dual_fmac_f32 v192, 0xbf5db3d7, v3 :: v_dual_add_f32 v3, v22, v194
	s_delay_alu instid0(VALU_DEP_1) | instskip(NEXT) | instid1(VALU_DEP_1)
	v_dual_add_f32 v22, v193, v22 :: v_dual_fmac_f32 v193, -0.5, v3
	v_fmamk_f32 v3, v4, 0xbf5db3d7, v193
	v_dual_fmac_f32 v193, 0x3f5db3d7, v4 :: v_dual_add_f32 v4, v195, v211
	s_delay_alu instid0(VALU_DEP_1) | instskip(NEXT) | instid1(VALU_DEP_1)
	v_fma_f32 v4, -0.5, v4, v207
	v_fmamk_f32 v6, v5, 0x3f5db3d7, v4
	v_dual_fmac_f32 v4, 0xbf5db3d7, v5 :: v_dual_add_f32 v5, v196, v212
	s_delay_alu instid0(VALU_DEP_1) | instskip(NEXT) | instid1(VALU_DEP_1)
	v_fma_f32 v5, -0.5, v5, v208
	v_fmamk_f32 v7, v21, 0xbf5db3d7, v5
	v_fmac_f32_e32 v5, 0x3f5db3d7, v21
	v_add_f32_e32 v21, v209, v197
	ds_store_2addr_b64 v28, v[192:193], v[4:5] offset0:74 offset1:164
	v_dual_add_f32 v4, v197, v213 :: v_dual_sub_f32 v5, v198, v214
	v_sub_f32_e32 v197, v215, v223
	s_delay_alu instid0(VALU_DEP_2) | instskip(NEXT) | instid1(VALU_DEP_1)
	v_fma_f32 v209, -0.5, v4, v209
	v_fmamk_f32 v4, v5, 0x3f5db3d7, v209
	v_fmac_f32_e32 v209, 0xbf5db3d7, v5
	v_add_f32_e32 v5, v198, v214
	v_add_f32_e32 v198, v210, v198
	s_delay_alu instid0(VALU_DEP_2) | instskip(NEXT) | instid1(VALU_DEP_1)
	v_fmac_f32_e32 v210, -0.5, v5
	v_fmamk_f32 v5, v190, 0xbf5db3d7, v210
	v_fmac_f32_e32 v210, 0x3f5db3d7, v190
	v_add_f32_e32 v190, v215, v223
	s_delay_alu instid0(VALU_DEP_1) | instskip(NEXT) | instid1(VALU_DEP_1)
	v_fma_f32 v190, -0.5, v190, v219
	v_fmamk_f32 v192, v191, 0x3f5db3d7, v190
	v_dual_fmac_f32 v190, 0xbf5db3d7, v191 :: v_dual_add_f32 v191, v216, v224
	s_delay_alu instid0(VALU_DEP_1) | instskip(NEXT) | instid1(VALU_DEP_1)
	v_fma_f32 v191, -0.5, v191, v220
	v_fmamk_f32 v193, v197, 0xbf5db3d7, v191
	v_fmac_f32_e32 v191, 0x3f5db3d7, v197
	ds_store_2addr_b64 v44, v[209:210], v[190:191] offset0:126 offset1:216
	v_dual_add_f32 v190, v207, v195 :: v_dual_add_f32 v191, v208, v196
	ds_store_2addr_b64 v244, v[8:9], v[177:178] offset0:52 offset1:142
	ds_store_2addr_b64 v243, v[0:1], v[10:11] offset0:146 offset1:236
	v_dual_add_f32 v0, v19, v23 :: v_dual_add_f32 v1, v20, v186
	v_dual_add_f32 v8, v16, v188 :: v_dual_add_f32 v9, v22, v194
	ds_store_2addr_b64 v233, v[0:1], v[8:9] offset0:104 offset1:194
	ds_store_2addr_b64 v25, v[2:3], v[6:7] offset0:70 offset1:160
	v_dual_add_f32 v0, v190, v211 :: v_dual_add_f32 v1, v191, v212
	v_dual_add_f32 v2, v21, v213 :: v_dual_add_f32 v3, v198, v214
	ds_store_2addr_b64 v29, v[4:5], v[192:193] offset0:122 offset1:212
	v_add_co_u32 v6, vcc_lo, 0x5460, v176
	v_add_co_ci_u32_e32 v7, vcc_lo, 0, v180, vcc_lo
	ds_store_2addr_b64 v187, v[0:1], v[2:3] offset0:28 offset1:118
	v_dual_add_f32 v0, v219, v215 :: v_dual_add_f32 v1, v220, v216
	v_dual_add_f32 v2, v221, v217 :: v_dual_add_f32 v3, v222, v218
	s_delay_alu instid0(VALU_DEP_2) | instskip(NEXT) | instid1(VALU_DEP_2)
	v_dual_add_f32 v0, v0, v223 :: v_dual_add_f32 v1, v1, v224
	v_dual_add_f32 v2, v2, v225 :: v_dual_add_f32 v3, v3, v226
	ds_store_2addr_b64 v27, v[0:1], v[2:3] offset0:80 offset1:170
	v_dual_add_f32 v0, v217, v225 :: v_dual_sub_f32 v1, v218, v226
	v_sub_f32_e32 v2, v217, v225
	s_delay_alu instid0(VALU_DEP_2) | instskip(SKIP_1) | instid1(VALU_DEP_1)
	v_fma_f32 v221, -0.5, v0, v221
	v_add_f32_e32 v0, v218, v226
	v_fmac_f32_e32 v222, -0.5, v0
	s_delay_alu instid0(VALU_DEP_3) | instskip(SKIP_1) | instid1(VALU_DEP_3)
	v_fmamk_f32 v0, v1, 0x3f5db3d7, v221
	v_fmac_f32_e32 v221, 0xbf5db3d7, v1
	v_fmamk_f32 v1, v2, 0xbf5db3d7, v222
	v_fmac_f32_e32 v222, 0x3f5db3d7, v2
	ds_store_b64 v179, v[221:222] offset:20880
	ds_store_b64 v179, v[0:1] offset:13680
	s_waitcnt lgkmcnt(0)
	s_waitcnt_vscnt null, 0x0
	s_barrier
	buffer_gl0_inv
	s_clause 0x3
	global_load_b64 v[4:5], v[237:238], off offset:1120
	global_load_b64 v[8:9], v[6:7], off offset:720
	;; [unrolled: 1-line block ×4, first 2 shown]
	ds_load_2addr_b64 v[0:3], v179 offset1:90
	s_waitcnt vmcnt(2) lgkmcnt(0)
	v_mul_f32_e32 v21, v2, v9
	v_mul_f32_e32 v12, v1, v5
	;; [unrolled: 1-line block ×3, first 2 shown]
	v_dual_mov_b32 v39, v26 :: v_dual_mov_b32 v26, v232
	s_delay_alu instid0(VALU_DEP_4) | instskip(NEXT) | instid1(VALU_DEP_4)
	v_fmac_f32_e32 v21, v3, v8
	v_fma_f32 v190, v0, v4, -v12
	s_delay_alu instid0(VALU_DEP_4) | instskip(SKIP_1) | instid1(VALU_DEP_2)
	v_dual_mul_f32 v0, v3, v9 :: v_dual_fmac_f32 v191, v1, v4
	v_mov_b32_e32 v37, v32
	v_fma_f32 v20, v2, v8, -v0
	v_add_co_u32 v8, vcc_lo, 0x7000, v176
	v_add_co_ci_u32_e32 v9, vcc_lo, 0, v180, vcc_lo
	ds_store_b64 v179, v[190:191]
	s_clause 0x2
	global_load_b64 v[190:191], v[8:9], off offset:128
	global_load_b64 v[192:193], v[8:9], off offset:848
	;; [unrolled: 1-line block ×3, first 2 shown]
	ds_load_2addr_b64 v[0:3], v235 offset0:132 offset1:222
	s_waitcnt vmcnt(2) lgkmcnt(0)
	v_mul_f32_e32 v4, v1, v191
	v_mul_f32_e32 v197, v0, v191
	s_waitcnt vmcnt(1)
	v_mul_f32_e32 v191, v2, v193
	s_delay_alu instid0(VALU_DEP_3) | instskip(NEXT) | instid1(VALU_DEP_3)
	v_fma_f32 v196, v0, v190, -v4
	v_dual_mul_f32 v0, v3, v193 :: v_dual_fmac_f32 v197, v1, v190
	s_delay_alu instid0(VALU_DEP_3) | instskip(NEXT) | instid1(VALU_DEP_2)
	v_fmac_f32_e32 v191, v3, v192
	v_fma_f32 v190, v2, v192, -v0
	v_add_co_u32 v192, vcc_lo, 0x8000, v176
	v_add_co_ci_u32_e32 v193, vcc_lo, 0, v180, vcc_lo
	v_add_co_u32 v207, vcc_lo, 0x9000, v176
	v_add_co_ci_u32_e32 v208, vcc_lo, 0, v180, vcc_lo
	s_clause 0x3
	global_load_b64 v[209:210], v[192:193], off offset:3232
	global_load_b64 v[211:212], v[192:193], off offset:3952
	;; [unrolled: 1-line block ×4, first 2 shown]
	ds_load_2addr_b64 v[0:3], v236 offset0:8 offset1:98
	s_waitcnt vmcnt(3) lgkmcnt(0)
	v_mul_f32_e32 v4, v1, v210
	v_mul_f32_e32 v218, v0, v210
	s_waitcnt vmcnt(2)
	v_mul_f32_e32 v210, v2, v212
	s_delay_alu instid0(VALU_DEP_3) | instskip(SKIP_2) | instid1(VALU_DEP_4)
	v_fma_f32 v217, v0, v209, -v4
	v_mul_f32_e32 v0, v3, v212
	v_fmac_f32_e32 v218, v1, v209
	v_fmac_f32_e32 v210, v3, v211
	s_delay_alu instid0(VALU_DEP_3) | instskip(SKIP_4) | instid1(VALU_DEP_2)
	v_fma_f32 v209, v2, v211, -v0
	ds_load_2addr_b64 v[0:3], v244 offset0:52 offset1:142
	s_waitcnt lgkmcnt(0)
	v_mul_f32_e32 v4, v1, v11
	v_dual_mul_f32 v212, v0, v11 :: v_dual_mul_f32 v19, v2, v178
	v_fma_f32 v211, v0, v10, -v4
	v_mul_f32_e32 v0, v3, v178
	s_delay_alu instid0(VALU_DEP_3) | instskip(NEXT) | instid1(VALU_DEP_2)
	v_dual_fmac_f32 v19, v3, v177 :: v_dual_fmac_f32 v212, v1, v10
	v_fma_f32 v18, v2, v177, -v0
	s_clause 0x4
	global_load_b64 v[177:178], v[8:9], off offset:1568
	global_load_b64 v[219:220], v[8:9], off offset:2288
	;; [unrolled: 1-line block ×5, first 2 shown]
	ds_load_2addr_b64 v[0:3], v243 offset0:56 offset1:146
	s_waitcnt vmcnt(4) lgkmcnt(0)
	v_mul_f32_e32 v4, v1, v178
	v_mul_f32_e32 v224, v0, v178
	s_waitcnt vmcnt(3)
	v_mul_f32_e32 v178, v2, v220
	s_delay_alu instid0(VALU_DEP_3) | instskip(SKIP_2) | instid1(VALU_DEP_4)
	v_fma_f32 v223, v0, v177, -v4
	v_mul_f32_e32 v0, v3, v220
	v_fmac_f32_e32 v224, v1, v177
	v_fmac_f32_e32 v178, v3, v219
	s_delay_alu instid0(VALU_DEP_3)
	v_fma_f32 v177, v2, v219, -v0
	ds_load_2addr_b64 v[0:3], v234 offset0:60 offset1:150
	s_waitcnt lgkmcnt(0)
	v_mul_f32_e32 v4, v1, v214
	v_mul_f32_e32 v220, v0, v214
	v_mul_f32_e32 v214, v2, v216
	s_delay_alu instid0(VALU_DEP_3) | instskip(SKIP_1) | instid1(VALU_DEP_4)
	v_fma_f32 v219, v0, v213, -v4
	v_mul_f32_e32 v0, v3, v216
	v_fmac_f32_e32 v220, v1, v213
	s_delay_alu instid0(VALU_DEP_4) | instskip(NEXT) | instid1(VALU_DEP_3)
	v_fmac_f32_e32 v214, v3, v215
	v_fma_f32 v213, v2, v215, -v0
	ds_load_2addr_b64 v[0:3], v233 offset0:104 offset1:194
	s_waitcnt vmcnt(0) lgkmcnt(0)
	v_mul_f32_e32 v4, v1, v7
	v_mul_f32_e32 v216, v0, v7
	;; [unrolled: 1-line block ×3, first 2 shown]
	s_delay_alu instid0(VALU_DEP_3) | instskip(SKIP_1) | instid1(VALU_DEP_4)
	v_fma_f32 v215, v0, v6, -v4
	v_mul_f32_e32 v0, v3, v195
	v_fmac_f32_e32 v216, v1, v6
	s_delay_alu instid0(VALU_DEP_4) | instskip(NEXT) | instid1(VALU_DEP_3)
	v_fmac_f32_e32 v17, v3, v194
	v_fma_f32 v16, v2, v194, -v0
	ds_load_2addr_b64 v[0:3], v32 offset0:108 offset1:198
	s_waitcnt lgkmcnt(0)
	v_mul_f32_e32 v4, v1, v222
	v_dual_mul_f32 v195, v0, v222 :: v_dual_mul_f32 v222, v2, v9
	s_delay_alu instid0(VALU_DEP_2) | instskip(SKIP_1) | instid1(VALU_DEP_3)
	v_fma_f32 v194, v0, v221, -v4
	v_mul_f32_e32 v0, v3, v9
	v_dual_fmac_f32 v195, v1, v221 :: v_dual_fmac_f32 v222, v3, v8
	s_delay_alu instid0(VALU_DEP_2)
	v_fma_f32 v221, v2, v8, -v0
	s_clause 0x2
	global_load_b64 v[8:9], v[207:208], off offset:2016
	global_load_b64 v[225:226], v[207:208], off offset:2736
	;; [unrolled: 1-line block ×3, first 2 shown]
	ds_load_2addr_b64 v[0:3], v232 offset0:112 offset1:202
	s_waitcnt vmcnt(2) lgkmcnt(0)
	v_mul_f32_e32 v4, v1, v9
	s_waitcnt vmcnt(1)
	v_dual_mul_f32 v228, v0, v9 :: v_dual_mul_f32 v13, v2, v226
	s_delay_alu instid0(VALU_DEP_2) | instskip(SKIP_1) | instid1(VALU_DEP_3)
	v_fma_f32 v227, v0, v8, -v4
	v_mul_f32_e32 v0, v3, v226
	v_dual_fmac_f32 v13, v3, v225 :: v_dual_fmac_f32 v228, v1, v8
	s_delay_alu instid0(VALU_DEP_2)
	v_fma_f32 v12, v2, v225, -v0
	v_add_co_u32 v225, vcc_lo, 0x6000, v176
	v_add_co_ci_u32_e32 v226, vcc_lo, 0, v180, vcc_lo
	ds_load_2addr_b64 v[0:3], v187 offset0:28 offset1:118
	global_load_b64 v[229:230], v[225:226], off offset:1344
	s_waitcnt vmcnt(0) lgkmcnt(0)
	v_mul_f32_e32 v4, v1, v230
	v_mul_f32_e32 v238, v0, v230
	s_delay_alu instid0(VALU_DEP_2) | instskip(NEXT) | instid1(VALU_DEP_2)
	v_fma_f32 v237, v0, v229, -v4
	v_fmac_f32_e32 v238, v1, v229
	s_clause 0x2
	global_load_b64 v[0:1], v[225:226], off offset:2064
	global_load_b64 v[229:230], v[225:226], off offset:2784
	;; [unrolled: 1-line block ×3, first 2 shown]
	s_waitcnt vmcnt(2)
	v_mul_f32_e32 v4, v3, v1
	v_mul_f32_e32 v232, v2, v1
	s_delay_alu instid0(VALU_DEP_2)
	v_fma_f32 v231, v2, v0, -v4
	s_clause 0x3
	global_load_b64 v[234:235], v[192:193], off offset:352
	global_load_b64 v[4:5], v[192:193], off offset:1072
	;; [unrolled: 1-line block ×4, first 2 shown]
	v_fmac_f32_e32 v232, v3, v0
	ds_load_2addr_b64 v[0:3], v25 offset0:160 offset1:250
	s_waitcnt vmcnt(3) lgkmcnt(0)
	v_mul_f32_e32 v6, v1, v235
	v_mul_f32_e32 v11, v0, v235
	s_waitcnt vmcnt(2)
	v_mul_f32_e32 v235, v2, v5
	s_delay_alu instid0(VALU_DEP_3) | instskip(NEXT) | instid1(VALU_DEP_3)
	v_fma_f32 v10, v0, v234, -v6
	v_dual_mul_f32 v0, v3, v5 :: v_dual_fmac_f32 v11, v1, v234
	s_delay_alu instid0(VALU_DEP_3) | instskip(NEXT) | instid1(VALU_DEP_2)
	v_fmac_f32_e32 v235, v3, v4
	v_fma_f32 v234, v2, v4, -v0
	ds_load_2addr_b64 v[0:3], v44 offset0:36 offset1:126
	s_waitcnt lgkmcnt(0)
	v_mul_f32_e32 v4, v1, v208
	v_mul_f32_e32 v9, v0, v208
	s_delay_alu instid0(VALU_DEP_2) | instskip(NEXT) | instid1(VALU_DEP_2)
	v_fma_f32 v8, v0, v207, -v4
	v_fmac_f32_e32 v9, v1, v207
	v_add_co_u32 v207, vcc_lo, 0xa000, v176
	v_add_co_ci_u32_e32 v208, vcc_lo, 0, v180, vcc_lo
	global_load_b64 v[0:1], v[207:208], off offset:80
	s_waitcnt vmcnt(0)
	v_mul_f32_e32 v4, v3, v1
	v_mul_f32_e32 v7, v2, v1
	s_delay_alu instid0(VALU_DEP_2) | instskip(NEXT) | instid1(VALU_DEP_2)
	v_fma_f32 v6, v2, v0, -v4
	v_fmac_f32_e32 v7, v3, v0
	ds_load_2addr_b64 v[0:3], v27 offset0:80 offset1:170
	s_waitcnt lgkmcnt(0)
	v_mul_f32_e32 v4, v1, v230
	v_mul_f32_e32 v5, v0, v230
	;; [unrolled: 1-line block ×3, first 2 shown]
	s_delay_alu instid0(VALU_DEP_3) | instskip(NEXT) | instid1(VALU_DEP_3)
	v_fma_f32 v4, v0, v229, -v4
	v_dual_mul_f32 v0, v3, v226 :: v_dual_fmac_f32 v5, v1, v229
	s_delay_alu instid0(VALU_DEP_3) | instskip(NEXT) | instid1(VALU_DEP_2)
	v_fmac_f32_e32 v23, v3, v225
	v_fma_f32 v22, v2, v225, -v0
	ds_load_2addr_b64 v[0:3], v189 offset0:84 offset1:174
	s_waitcnt lgkmcnt(0)
	v_mul_f32_e32 v176, v1, v15
	v_dual_mul_f32 v226, v0, v15 :: v_dual_mul_f32 v15, v2, v193
	s_delay_alu instid0(VALU_DEP_2) | instskip(SKIP_1) | instid1(VALU_DEP_3)
	v_fma_f32 v225, v0, v14, -v176
	v_mul_f32_e32 v0, v3, v193
	v_dual_fmac_f32 v226, v1, v14 :: v_dual_fmac_f32 v15, v3, v192
	s_delay_alu instid0(VALU_DEP_2)
	v_fma_f32 v14, v2, v192, -v0
	s_clause 0x1
	global_load_b64 v[192:193], v[207:208], off offset:800
	global_load_b64 v[207:208], v[207:208], off offset:1520
	ds_load_2addr_b64 v[0:3], v185 offset0:88 offset1:178
	v_mov_b32_e32 v185, v37
	s_waitcnt vmcnt(1) lgkmcnt(0)
	v_mul_f32_e32 v176, v1, v193
	v_mul_f32_e32 v230, v0, v193
	s_delay_alu instid0(VALU_DEP_2) | instskip(SKIP_2) | instid1(VALU_DEP_3)
	v_fma_f32 v229, v0, v192, -v176
	s_waitcnt vmcnt(0)
	v_mul_f32_e32 v0, v3, v208
	v_fmac_f32_e32 v230, v1, v192
	v_mul_f32_e32 v1, v2, v208
	s_delay_alu instid0(VALU_DEP_3) | instskip(SKIP_1) | instid1(VALU_DEP_3)
	v_fma_f32 v0, v2, v207, -v0
	v_add_nc_u32_e32 v2, 0xc00, v179
	v_fmac_f32_e32 v1, v3, v207
	ds_store_2addr_b64 v2, v[16:17], v[237:238] offset0:66 offset1:156
	v_add_nc_u32_e32 v2, 0x3400, v179
	ds_store_2addr_b64 v2, v[14:15], v[217:218] offset0:46 offset1:136
	ds_store_2addr_b64 v179, v[20:21], v[211:212] offset0:90 offset1:180
	;; [unrolled: 1-line block ×13, first 2 shown]
	scratch_store_b32 off, v179, off offset:484 ; 4-byte Folded Spill
	ds_store_b64 v179, v[0:1] offset:20880
	s_waitcnt lgkmcnt(0)
	s_waitcnt_vscnt null, 0x0
	s_barrier
	buffer_gl0_inv
	ds_load_2addr_b64 v[0:3], v179 offset1:90
	ds_load_2addr_b64 v[4:7], v35 offset0:132 offset1:222
	ds_load_2addr_b64 v[8:11], v236 offset0:8 offset1:98
	s_waitcnt lgkmcnt(1)
	v_dual_mov_b32 v179, v26 :: v_dual_add_f32 v12, v0, v4
	s_waitcnt lgkmcnt(0)
	v_add_f32_e32 v178, v4, v8
	v_sub_f32_e32 v180, v5, v9
	v_add_f32_e32 v13, v1, v5
	v_add_f32_e32 v186, v5, v9
	v_sub_f32_e32 v188, v4, v8
	v_dual_add_f32 v4, v2, v6 :: v_dual_add_f32 v5, v3, v7
	v_dual_add_f32 v198, v6, v10 :: v_dual_sub_f32 v217, v7, v11
	v_dual_add_f32 v218, v7, v11 :: v_dual_sub_f32 v219, v6, v10
	v_dual_add_f32 v31, v12, v8 :: v_dual_add_f32 v32, v13, v9
	s_delay_alu instid0(VALU_DEP_4)
	v_dual_add_f32 v14, v4, v10 :: v_dual_add_f32 v15, v5, v11
	ds_load_2addr_b64 v[4:7], v244 offset0:52 offset1:142
	ds_load_2addr_b64 v[8:11], v243 offset0:56 offset1:146
	;; [unrolled: 1-line block ×3, first 2 shown]
	v_fma_f32 v0, -0.5, v178, v0
	v_fma_f32 v1, -0.5, v186, v1
	v_mov_b32_e32 v13, v33
	v_fma_f32 v2, -0.5, v198, v2
	s_waitcnt lgkmcnt(1)
	v_dual_fmac_f32 v3, -0.5, v218 :: v_dual_add_f32 v16, v4, v8
	s_waitcnt lgkmcnt(0)
	v_dual_add_f32 v220, v8, v190 :: v_dual_sub_f32 v221, v9, v191
	v_add_f32_e32 v17, v5, v9
	v_dual_add_f32 v222, v9, v191 :: v_dual_sub_f32 v223, v8, v190
	v_dual_add_f32 v8, v6, v10 :: v_dual_add_f32 v9, v7, v11
	v_dual_add_f32 v224, v10, v192 :: v_dual_sub_f32 v225, v11, v193
	v_dual_add_f32 v226, v11, v193 :: v_dual_sub_f32 v227, v10, v192
	v_dual_add_f32 v16, v16, v190 :: v_dual_add_f32 v17, v17, v191
	s_delay_alu instid0(VALU_DEP_4)
	v_dual_add_f32 v18, v8, v192 :: v_dual_add_f32 v19, v9, v193
	ds_load_2addr_b64 v[8:11], v233 offset0:104 offset1:194
	ds_load_2addr_b64 v[190:193], v37 offset0:108 offset1:198
	;; [unrolled: 1-line block ×3, first 2 shown]
	v_fma_f32 v6, -0.5, v224, v6
	v_fmac_f32_e32 v7, -0.5, v226
	s_waitcnt lgkmcnt(1)
	v_dual_add_f32 v20, v8, v190 :: v_dual_add_f32 v21, v9, v191
	v_dual_add_f32 v22, v10, v192 :: v_dual_add_f32 v23, v11, v193
	s_waitcnt lgkmcnt(0)
	v_dual_add_f32 v228, v190, v194 :: v_dual_sub_f32 v229, v191, v195
	v_dual_add_f32 v230, v191, v195 :: v_dual_sub_f32 v231, v190, v194
	v_add_f32_e32 v232, v192, v196
	v_sub_f32_e32 v234, v193, v197
	v_add_f32_e32 v235, v193, v197
	v_sub_f32_e32 v237, v192, v196
	v_dual_add_f32 v20, v20, v194 :: v_dual_add_f32 v21, v21, v195
	v_dual_add_f32 v22, v22, v196 :: v_dual_add_f32 v23, v23, v197
	ds_load_2addr_b64 v[190:193], v187 offset0:28 offset1:118
	ds_load_2addr_b64 v[194:197], v25 offset0:160 offset1:250
	;; [unrolled: 1-line block ×3, first 2 shown]
	v_fma_f32 v10, -0.5, v232, v10
	s_waitcnt lgkmcnt(1)
	v_dual_fmac_f32 v11, -0.5, v235 :: v_dual_add_f32 v176, v190, v194
	s_waitcnt lgkmcnt(0)
	v_add_f32_e32 v238, v194, v207
	v_add_f32_e32 v25, v191, v195
	v_dual_sub_f32 v27, v194, v207 :: v_dual_add_f32 v194, v192, v196
	v_add_f32_e32 v30, v193, v197
	v_sub_f32_e32 v28, v195, v208
	v_dual_add_f32 v36, v195, v208 :: v_dual_add_f32 v43, v196, v209
	v_sub_f32_e32 v29, v197, v210
	v_add_f32_e32 v38, v197, v210
	v_sub_f32_e32 v26, v196, v209
	v_dual_add_f32 v176, v176, v207 :: v_dual_add_f32 v177, v25, v208
	v_add_f32_e32 v215, v194, v209
	v_add_f32_e32 v216, v30, v210
	ds_load_2addr_b64 v[194:197], v45 offset0:80 offset1:170
	ds_load_2addr_b64 v[207:210], v189 offset0:84 offset1:174
	;; [unrolled: 1-line block ×3, first 2 shown]
	s_waitcnt lgkmcnt(0)
	s_barrier
	buffer_gl0_inv
	v_fma_f32 v192, -0.5, v43, v192
	v_fmac_f32_e32 v193, -0.5, v38
	v_add_f32_e32 v12, v197, v210
	v_sub_f32_e32 v39, v210, v214
	v_add_f32_e32 v41, v210, v214
	v_dual_add_f32 v25, v194, v207 :: v_dual_add_f32 v34, v195, v208
	s_delay_alu instid0(VALU_DEP_4)
	v_add_f32_e32 v210, v12, v214
	scratch_load_b32 v12, off, off offset:260 ; 4-byte Folded Reload
	v_dual_add_f32 v30, v207, v211 :: v_dual_sub_f32 v33, v208, v212
	v_dual_add_f32 v35, v208, v212 :: v_dual_sub_f32 v24, v207, v211
	v_dual_add_f32 v207, v25, v211 :: v_dual_add_f32 v208, v34, v212
	v_fmamk_f32 v211, v180, 0xbf5db3d7, v0
	v_fmamk_f32 v212, v188, 0x3f5db3d7, v1
	v_fmac_f32_e32 v0, 0x3f5db3d7, v180
	v_fmac_f32_e32 v1, 0xbf5db3d7, v188
	s_waitcnt vmcnt(0)
	ds_store_2addr_b64 v12, v[31:32], v[211:212] offset1:1
	ds_store_b64 v12, v[0:1] offset:16
	scratch_load_b32 v12, off, off offset:256 ; 4-byte Folded Reload
	v_fmamk_f32 v0, v217, 0xbf5db3d7, v2
	v_dual_fmamk_f32 v1, v219, 0x3f5db3d7, v3 :: v_dual_fmac_f32 v2, 0x3f5db3d7, v217
	v_fmac_f32_e32 v3, 0xbf5db3d7, v219
	s_waitcnt vmcnt(0)
	ds_store_2addr_b64 v12, v[14:15], v[0:1] offset1:1
	ds_store_b64 v12, v[2:3] offset:16
	v_fma_f32 v0, -0.5, v220, v4
	scratch_load_b32 v4, off, off offset:252 ; 4-byte Folded Reload
	v_fma_f32 v1, -0.5, v222, v5
	v_add_f32_e32 v40, v209, v213
	v_dual_add_f32 v37, v196, v209 :: v_dual_fmamk_f32 v2, v221, 0xbf5db3d7, v0
	s_delay_alu instid0(VALU_DEP_3)
	v_dual_fmac_f32 v0, 0x3f5db3d7, v221 :: v_dual_fmamk_f32 v3, v223, 0x3f5db3d7, v1
	v_fmac_f32_e32 v1, 0xbf5db3d7, v223
	s_waitcnt vmcnt(0)
	ds_store_2addr_b64 v4, v[16:17], v[2:3] offset1:1
	ds_store_b64 v4, v[0:1] offset:16
	scratch_load_b32 v2, off, off offset:468 ; 4-byte Folded Reload
	v_fmamk_f32 v0, v225, 0xbf5db3d7, v6
	v_dual_fmamk_f32 v1, v227, 0x3f5db3d7, v7 :: v_dual_fmac_f32 v6, 0x3f5db3d7, v225
	v_fmac_f32_e32 v7, 0xbf5db3d7, v227
	s_waitcnt vmcnt(0)
	ds_store_2addr_b64 v2, v[18:19], v[0:1] offset1:1
	ds_store_b64 v2, v[6:7] offset:16
	scratch_load_b32 v4, off, off offset:464 ; 4-byte Folded Reload
	v_fma_f32 v0, -0.5, v228, v8
	v_fma_f32 v1, -0.5, v230, v9
	v_sub_f32_e32 v42, v209, v213
	v_fma_f32 v196, -0.5, v40, v196
	s_delay_alu instid0(VALU_DEP_4) | instskip(NEXT) | instid1(VALU_DEP_4)
	v_dual_fmac_f32 v197, -0.5, v41 :: v_dual_fmamk_f32 v2, v229, 0xbf5db3d7, v0
	v_dual_fmamk_f32 v3, v231, 0x3f5db3d7, v1 :: v_dual_fmac_f32 v0, 0x3f5db3d7, v229
	v_fmac_f32_e32 v1, 0xbf5db3d7, v231
	s_waitcnt vmcnt(0)
	ds_store_2addr_b64 v4, v[20:21], v[2:3] offset1:1
	ds_store_b64 v4, v[0:1] offset:16
	scratch_load_b32 v2, off, off offset:460 ; 4-byte Folded Reload
	v_fmamk_f32 v0, v234, 0xbf5db3d7, v10
	v_dual_fmamk_f32 v1, v237, 0x3f5db3d7, v11 :: v_dual_fmac_f32 v10, 0x3f5db3d7, v234
	v_fmac_f32_e32 v11, 0xbf5db3d7, v237
	s_waitcnt vmcnt(0)
	ds_store_2addr_b64 v2, v[22:23], v[0:1] offset1:1
	ds_store_b64 v2, v[10:11] offset:16
	scratch_load_b32 v4, off, off offset:456 ; 4-byte Folded Reload
	v_fma_f32 v0, -0.5, v238, v190
	v_fma_f32 v1, -0.5, v36, v191
	v_add_f32_e32 v209, v37, v213
	v_mov_b32_e32 v191, v13
	s_delay_alu instid0(VALU_DEP_4) | instskip(NEXT) | instid1(VALU_DEP_4)
	v_dual_mov_b32 v37, v45 :: v_dual_fmamk_f32 v2, v28, 0xbf5db3d7, v0
	v_dual_fmamk_f32 v3, v27, 0x3f5db3d7, v1 :: v_dual_fmac_f32 v0, 0x3f5db3d7, v28
	v_fmac_f32_e32 v1, 0xbf5db3d7, v27
	s_waitcnt vmcnt(0)
	ds_store_2addr_b64 v4, v[176:177], v[2:3] offset1:1
	ds_store_b64 v4, v[0:1] offset:16
	scratch_load_b32 v2, off, off offset:452 ; 4-byte Folded Reload
	v_fmamk_f32 v0, v29, 0xbf5db3d7, v192
	v_dual_fmamk_f32 v1, v26, 0x3f5db3d7, v193 :: v_dual_fmac_f32 v192, 0x3f5db3d7, v29
	v_fmac_f32_e32 v193, 0xbf5db3d7, v26
	s_waitcnt vmcnt(0)
	ds_store_2addr_b64 v2, v[215:216], v[0:1] offset1:1
	ds_store_b64 v2, v[192:193] offset:16
	scratch_load_b32 v4, off, off offset:448 ; 4-byte Folded Reload
	v_fma_f32 v0, -0.5, v30, v194
	v_fma_f32 v1, -0.5, v35, v195
	s_delay_alu instid0(VALU_DEP_2) | instskip(NEXT) | instid1(VALU_DEP_2)
	v_fmamk_f32 v2, v33, 0xbf5db3d7, v0
	v_dual_fmamk_f32 v3, v24, 0x3f5db3d7, v1 :: v_dual_fmac_f32 v0, 0x3f5db3d7, v33
	v_fmac_f32_e32 v1, 0xbf5db3d7, v24
	s_waitcnt vmcnt(0)
	ds_store_2addr_b64 v4, v[207:208], v[2:3] offset1:1
	ds_store_b64 v4, v[0:1] offset:16
	scratch_load_b32 v2, off, off offset:444 ; 4-byte Folded Reload
	v_fmamk_f32 v0, v39, 0xbf5db3d7, v196
	v_dual_fmamk_f32 v1, v42, 0x3f5db3d7, v197 :: v_dual_fmac_f32 v196, 0x3f5db3d7, v39
	v_fmac_f32_e32 v197, 0xbf5db3d7, v42
	s_waitcnt vmcnt(0)
	ds_store_2addr_b64 v2, v[209:210], v[0:1] offset1:1
	ds_store_b64 v2, v[196:197] offset:16
	s_waitcnt lgkmcnt(0)
	s_barrier
	buffer_gl0_inv
	ds_load_2addr_b64 v[0:3], v13 offset0:88 offset1:178
	scratch_load_b32 v40, off, off offset:484 ; 4-byte Folded Reload
	s_waitcnt lgkmcnt(0)
	v_dual_mul_f32 v237, v248, v1 :: v_dual_mul_f32 v180, v250, v3
	s_delay_alu instid0(VALU_DEP_1) | instskip(SKIP_1) | instid1(VALU_DEP_3)
	v_fmac_f32_e32 v237, v247, v0
	v_mul_f32_e32 v0, v248, v0
	v_fmac_f32_e32 v180, v249, v2
	s_delay_alu instid0(VALU_DEP_2) | instskip(SKIP_1) | instid1(VALU_DEP_1)
	v_fma_f32 v238, v247, v1, -v0
	v_mul_f32_e32 v0, v250, v2
	v_fma_f32 v247, v249, v3, -v0
	ds_load_2addr_b64 v[0:3], v44 offset0:36 offset1:126
	s_waitcnt lgkmcnt(0)
	v_mul_f32_e32 v248, v246, v3
	v_mul_f32_e32 v176, v175, v1
	s_delay_alu instid0(VALU_DEP_2) | instskip(SKIP_1) | instid1(VALU_DEP_3)
	v_fmac_f32_e32 v248, v245, v2
	v_mul_f32_e32 v2, v246, v2
	v_fmac_f32_e32 v176, v174, v0
	v_mul_f32_e32 v0, v175, v0
	s_delay_alu instid0(VALU_DEP_3) | instskip(NEXT) | instid1(VALU_DEP_2)
	v_fma_f32 v246, v245, v3, -v2
	v_fma_f32 v175, v174, v1, -v0
	ds_load_2addr_b64 v[0:3], v47 offset0:60 offset1:150
	s_waitcnt lgkmcnt(0)
	v_mul_f32_e32 v174, v173, v3
	s_delay_alu instid0(VALU_DEP_1) | instskip(SKIP_2) | instid1(VALU_DEP_2)
	v_fmac_f32_e32 v174, v172, v2
	v_mul_f32_e32 v2, v173, v2
	v_mul_f32_e32 v173, v165, v1
	v_fma_f32 v172, v172, v3, -v2
	s_delay_alu instid0(VALU_DEP_2) | instskip(SKIP_1) | instid1(VALU_DEP_1)
	v_fmac_f32_e32 v173, v164, v0
	v_mul_f32_e32 v0, v165, v0
	v_fma_f32 v164, v164, v1, -v0
	ds_load_2addr_b64 v[0:3], v179 offset0:112 offset1:202
	s_waitcnt lgkmcnt(0)
	v_mul_f32_e32 v245, v167, v3
	s_delay_alu instid0(VALU_DEP_1) | instskip(SKIP_1) | instid1(VALU_DEP_1)
	v_fmac_f32_e32 v245, v166, v2
	v_mul_f32_e32 v2, v167, v2
	v_fma_f32 v165, v166, v3, -v2
	ds_load_2addr_b64 v[3:6], v236 offset0:8 offset1:98
	v_mul_f32_e32 v2, v159, v1
	s_delay_alu instid0(VALU_DEP_1) | instskip(SKIP_1) | instid1(VALU_DEP_1)
	v_fmac_f32_e32 v2, v158, v0
	v_mul_f32_e32 v0, v159, v0
	v_fma_f32 v159, v158, v1, -v0
	s_waitcnt lgkmcnt(0)
	v_mul_f32_e32 v250, v157, v6
	v_mul_f32_e32 v0, v157, v5
	s_delay_alu instid0(VALU_DEP_2) | instskip(NEXT) | instid1(VALU_DEP_2)
	v_fmac_f32_e32 v250, v156, v5
	v_fma_f32 v249, v156, v6, -v0
	v_mul_f32_e32 v156, v171, v4
	v_mul_f32_e32 v0, v171, v3
	s_delay_alu instid0(VALU_DEP_2) | instskip(NEXT) | instid1(VALU_DEP_2)
	v_fmac_f32_e32 v156, v170, v3
	v_fma_f32 v157, v170, v4, -v0
	ds_load_2addr_b64 v[3:6], v46 offset0:160 offset1:250
	s_waitcnt lgkmcnt(0)
	v_mul_f32_e32 v158, v169, v6
	v_mul_f32_e32 v0, v169, v5
	;; [unrolled: 1-line block ×3, first 2 shown]
	s_delay_alu instid0(VALU_DEP_3) | instskip(NEXT) | instid1(VALU_DEP_3)
	v_fmac_f32_e32 v158, v168, v5
	v_fma_f32 v168, v168, v6, -v0
	v_mul_f32_e32 v0, v153, v3
	s_delay_alu instid0(VALU_DEP_4) | instskip(NEXT) | instid1(VALU_DEP_2)
	v_fmac_f32_e32 v166, v152, v3
	v_fma_f32 v152, v152, v4, -v0
	ds_load_2addr_b64 v[3:6], v189 offset0:84 offset1:174
	s_waitcnt lgkmcnt(0)
	v_mul_f32_e32 v0, v155, v5
	v_mul_f32_e32 v167, v155, v6
	;; [unrolled: 1-line block ×3, first 2 shown]
	s_delay_alu instid0(VALU_DEP_3) | instskip(NEXT) | instid1(VALU_DEP_3)
	v_fma_f32 v153, v154, v6, -v0
	v_dual_mul_f32 v0, v147, v3 :: v_dual_fmac_f32 v167, v154, v5
	s_delay_alu instid0(VALU_DEP_3) | instskip(NEXT) | instid1(VALU_DEP_2)
	v_fmac_f32_e32 v186, v146, v3
	v_fma_f32 v171, v146, v4, -v0
	ds_load_2addr_b64 v[3:6], v185 offset0:108 offset1:198
	v_sub_f32_e32 v1, v2, v186
	s_waitcnt lgkmcnt(0)
	v_mul_f32_e32 v170, v145, v6
	v_mul_f32_e32 v0, v145, v5
	s_delay_alu instid0(VALU_DEP_2) | instskip(NEXT) | instid1(VALU_DEP_2)
	v_fmac_f32_e32 v170, v144, v5
	v_fma_f32 v169, v144, v6, -v0
	v_mul_f32_e32 v144, v163, v4
	v_mul_f32_e32 v0, v163, v3
	s_delay_alu instid0(VALU_DEP_4) | instskip(NEXT) | instid1(VALU_DEP_4)
	v_sub_f32_e32 v10, v170, v250
	v_sub_f32_e32 v194, v169, v249
	s_delay_alu instid0(VALU_DEP_4) | instskip(NEXT) | instid1(VALU_DEP_4)
	v_fmac_f32_e32 v144, v162, v3
	v_fma_f32 v147, v162, v4, -v0
	ds_load_2addr_b64 v[3:6], v255 offset0:132 offset1:222
	v_mov_b32_e32 v38, v47
	s_waitcnt lgkmcnt(0)
	v_mul_f32_e32 v0, v161, v5
	v_mul_f32_e32 v145, v161, v6
	;; [unrolled: 1-line block ×3, first 2 shown]
	s_delay_alu instid0(VALU_DEP_3) | instskip(NEXT) | instid1(VALU_DEP_3)
	v_fma_f32 v146, v160, v6, -v0
	v_dual_mul_f32 v0, v141, v3 :: v_dual_fmac_f32 v145, v160, v5
	s_delay_alu instid0(VALU_DEP_3) | instskip(NEXT) | instid1(VALU_DEP_2)
	v_fmac_f32_e32 v154, v140, v3
	v_fma_f32 v140, v140, v4, -v0
	ds_load_2addr_b64 v[3:6], v243 offset0:56 offset1:146
	s_waitcnt lgkmcnt(0)
	v_mul_f32_e32 v0, v143, v5
	v_mul_f32_e32 v155, v143, v6
	;; [unrolled: 1-line block ×3, first 2 shown]
	s_delay_alu instid0(VALU_DEP_3) | instskip(NEXT) | instid1(VALU_DEP_3)
	v_fma_f32 v143, v142, v6, -v0
	v_dual_mul_f32 v0, v139, v3 :: v_dual_fmac_f32 v155, v142, v5
	s_delay_alu instid0(VALU_DEP_3) | instskip(NEXT) | instid1(VALU_DEP_2)
	v_fmac_f32_e32 v163, v138, v3
	v_fma_f32 v162, v138, v4, -v0
	ds_load_2addr_b64 v[3:6], v45 offset0:80 offset1:170
	v_sub_f32_e32 v17, v163, v186
	s_waitcnt lgkmcnt(0)
	v_dual_sub_f32 v11, v162, v171 :: v_dual_mul_f32 v0, v137, v5
	v_dual_mul_f32 v161, v137, v6 :: v_dual_mul_f32 v138, v151, v4
	s_delay_alu instid0(VALU_DEP_2) | instskip(NEXT) | instid1(VALU_DEP_2)
	v_fma_f32 v160, v136, v6, -v0
	v_dual_mul_f32 v0, v151, v3 :: v_dual_fmac_f32 v161, v136, v5
	s_delay_alu instid0(VALU_DEP_3) | instskip(NEXT) | instid1(VALU_DEP_3)
	v_fmac_f32_e32 v138, v150, v3
	v_sub_f32_e32 v196, v160, v246
	s_delay_alu instid0(VALU_DEP_3)
	v_fma_f32 v139, v150, v4, -v0
	ds_load_2addr_b64 v[3:6], v233 offset0:104 offset1:194
	v_sub_f32_e32 v8, v161, v248
	s_waitcnt lgkmcnt(0)
	v_mul_f32_e32 v0, v149, v5
	v_mul_f32_e32 v136, v149, v6
	;; [unrolled: 1-line block ×3, first 2 shown]
	s_delay_alu instid0(VALU_DEP_3) | instskip(SKIP_1) | instid1(VALU_DEP_4)
	v_fma_f32 v137, v148, v6, -v0
	v_mul_f32_e32 v0, v133, v3
	v_fmac_f32_e32 v136, v148, v5
	s_delay_alu instid0(VALU_DEP_4) | instskip(NEXT) | instid1(VALU_DEP_3)
	v_fmac_f32_e32 v141, v132, v3
	v_fma_f32 v142, v132, v4, -v0
	ds_load_2addr_b64 v[3:6], v187 offset0:28 offset1:118
	s_waitcnt lgkmcnt(0)
	v_mul_f32_e32 v0, v135, v5
	v_mul_f32_e32 v188, v131, v4
	;; [unrolled: 1-line block ×3, first 2 shown]
	s_delay_alu instid0(VALU_DEP_3) | instskip(SKIP_1) | instid1(VALU_DEP_4)
	v_fma_f32 v149, v134, v6, -v0
	v_mul_f32_e32 v0, v131, v3
	v_fmac_f32_e32 v188, v130, v3
	s_delay_alu instid0(VALU_DEP_4) | instskip(NEXT) | instid1(VALU_DEP_3)
	v_fmac_f32_e32 v148, v134, v5
	v_fma_f32 v6, v130, v4, -v0
	ds_load_2addr_b64 v[130:133], v244 offset0:52 offset1:142
	v_sub_f32_e32 v16, v188, v2
	s_waitcnt lgkmcnt(0)
	v_mul_f32_e32 v150, v129, v133
	v_mul_f32_e32 v0, v129, v132
	s_delay_alu instid0(VALU_DEP_2) | instskip(NEXT) | instid1(VALU_DEP_2)
	v_fmac_f32_e32 v150, v128, v132
	v_fma_f32 v129, v128, v133, -v0
	s_waitcnt vmcnt(0)
	ds_load_2addr_b64 v[132:135], v40 offset1:90
	s_waitcnt lgkmcnt(0)
	s_barrier
	buffer_gl0_inv
	s_clause 0x2
	scratch_load_b32 v28, off, off offset:472
	scratch_load_b32 v36, off, off offset:424
	;; [unrolled: 1-line block ×3, first 2 shown]
	v_sub_f32_e32 v0, v188, v163
	s_delay_alu instid0(VALU_DEP_1) | instskip(SKIP_1) | instid1(VALU_DEP_1)
	v_add_f32_e32 v178, v0, v1
	v_dual_sub_f32 v0, v6, v162 :: v_dual_sub_f32 v1, v159, v171
	v_dual_add_f32 v177, v0, v1 :: v_dual_sub_f32 v0, v161, v170
	v_sub_f32_e32 v1, v248, v250
	s_delay_alu instid0(VALU_DEP_1) | instskip(SKIP_2) | instid1(VALU_DEP_1)
	v_add_f32_e32 v151, v0, v1
	v_sub_f32_e32 v0, v160, v169
	v_sub_f32_e32 v1, v246, v249
	v_add_f32_e32 v192, v0, v1
	v_add_f32_e32 v0, v170, v250
	s_delay_alu instid0(VALU_DEP_1) | instskip(NEXT) | instid1(VALU_DEP_1)
	v_fma_f32 v190, -0.5, v0, v150
	v_dual_add_f32 v0, v169, v249 :: v_dual_fmamk_f32 v5, v196, 0xbf737871, v190
	s_delay_alu instid0(VALU_DEP_1) | instskip(SKIP_1) | instid1(VALU_DEP_3)
	v_fma_f32 v0, -0.5, v0, v129
	v_fmac_f32_e32 v190, 0x3f737871, v196
	v_fmac_f32_e32 v5, 0xbf167918, v194
	s_delay_alu instid0(VALU_DEP_3) | instskip(SKIP_1) | instid1(VALU_DEP_4)
	v_fmamk_f32 v1, v8, 0x3f737871, v0
	v_fmac_f32_e32 v0, 0xbf737871, v8
	v_fmac_f32_e32 v190, 0x3f167918, v194
	s_delay_alu instid0(VALU_DEP_4) | instskip(NEXT) | instid1(VALU_DEP_4)
	v_fmac_f32_e32 v5, 0x3e9e377a, v151
	v_fmac_f32_e32 v1, 0x3f167918, v10
	s_delay_alu instid0(VALU_DEP_4) | instskip(NEXT) | instid1(VALU_DEP_2)
	v_fmac_f32_e32 v0, 0xbf167918, v10
	v_dual_fmac_f32 v190, 0x3e9e377a, v151 :: v_dual_fmac_f32 v1, 0x3e9e377a, v192
	s_delay_alu instid0(VALU_DEP_2) | instskip(NEXT) | instid1(VALU_DEP_2)
	v_fmac_f32_e32 v0, 0x3e9e377a, v192
	v_mul_f32_e32 v4, 0xbf167918, v1
	v_mul_f32_e32 v3, 0x3f4f1bbd, v1
	s_delay_alu instid0(VALU_DEP_2) | instskip(NEXT) | instid1(VALU_DEP_2)
	v_dual_add_f32 v1, v132, v188 :: v_dual_fmac_f32 v4, 0x3f4f1bbd, v5
	v_fmac_f32_e32 v3, 0x3f167918, v5
	s_delay_alu instid0(VALU_DEP_2) | instskip(SKIP_1) | instid1(VALU_DEP_2)
	v_add_f32_e32 v1, v1, v163
	v_sub_f32_e32 v5, v6, v159
	v_add_f32_e32 v1, v1, v186
	s_delay_alu instid0(VALU_DEP_1) | instskip(SKIP_1) | instid1(VALU_DEP_1)
	v_add_f32_e32 v128, v1, v2
	v_add_f32_e32 v1, v163, v186
	v_fma_f32 v198, -0.5, v1, v132
	v_add_f32_e32 v1, v133, v6
	s_delay_alu instid0(VALU_DEP_1) | instskip(NEXT) | instid1(VALU_DEP_3)
	v_add_f32_e32 v7, v1, v162
	v_fmamk_f32 v1, v5, 0xbf737871, v198
	v_fmac_f32_e32 v198, 0x3f737871, v5
	s_delay_alu instid0(VALU_DEP_3) | instskip(NEXT) | instid1(VALU_DEP_3)
	v_dual_add_f32 v12, v7, v171 :: v_dual_add_f32 v7, v150, v161
	v_fmac_f32_e32 v1, 0xbf167918, v11
	s_delay_alu instid0(VALU_DEP_3) | instskip(NEXT) | instid1(VALU_DEP_3)
	v_fmac_f32_e32 v198, 0x3f167918, v11
	v_dual_add_f32 v18, v12, v159 :: v_dual_add_f32 v9, v7, v170
	v_add_f32_e32 v7, v129, v160
	s_delay_alu instid0(VALU_DEP_4) | instskip(NEXT) | instid1(VALU_DEP_4)
	v_fmac_f32_e32 v1, 0x3e9e377a, v178
	v_fmac_f32_e32 v198, 0x3e9e377a, v178
	s_delay_alu instid0(VALU_DEP_3) | instskip(SKIP_1) | instid1(VALU_DEP_2)
	v_dual_add_f32 v14, v9, v250 :: v_dual_add_f32 v13, v7, v169
	v_add_f32_e32 v7, v162, v171
	v_add_f32_e32 v19, v14, v248
	s_delay_alu instid0(VALU_DEP_3) | instskip(NEXT) | instid1(VALU_DEP_3)
	v_add_f32_e32 v13, v13, v249
	v_fma_f32 v7, -0.5, v7, v133
	v_add_f32_e32 v14, v1, v4
	s_delay_alu instid0(VALU_DEP_4) | instskip(NEXT) | instid1(VALU_DEP_3)
	v_add_f32_e32 v12, v128, v19
	v_dual_add_f32 v20, v13, v246 :: v_dual_fmamk_f32 v9, v16, 0x3f737871, v7
	v_fmac_f32_e32 v7, 0xbf737871, v16
	s_delay_alu instid0(VALU_DEP_2) | instskip(NEXT) | instid1(VALU_DEP_3)
	v_add_f32_e32 v13, v18, v20
	v_fmac_f32_e32 v9, 0x3f167918, v17
	s_delay_alu instid0(VALU_DEP_3) | instskip(NEXT) | instid1(VALU_DEP_2)
	v_fmac_f32_e32 v7, 0xbf167918, v17
	v_fmac_f32_e32 v9, 0x3e9e377a, v177
	s_delay_alu instid0(VALU_DEP_2) | instskip(NEXT) | instid1(VALU_DEP_2)
	v_fmac_f32_e32 v7, 0x3e9e377a, v177
	v_add_f32_e32 v15, v9, v3
	s_waitcnt vmcnt(2)
	ds_store_2addr_b64 v28, v[12:13], v[14:15] offset1:3
	v_sub_f32_e32 v13, v186, v2
	v_add_f32_e32 v2, v188, v2
	v_sub_f32_e32 v12, v163, v188
	v_add_f32_e32 v14, v161, v248
	v_sub_f32_e32 v15, v250, v248
	s_delay_alu instid0(VALU_DEP_4) | instskip(NEXT) | instid1(VALU_DEP_4)
	v_fma_f32 v21, -0.5, v2, v132
	v_dual_add_f32 v12, v12, v13 :: v_dual_sub_f32 v13, v171, v159
	s_delay_alu instid0(VALU_DEP_4) | instskip(NEXT) | instid1(VALU_DEP_3)
	v_fmac_f32_e32 v150, -0.5, v14
	v_fmamk_f32 v2, v11, 0x3f737871, v21
	v_fmac_f32_e32 v21, 0xbf737871, v11
	v_sub_f32_e32 v11, v166, v173
	s_delay_alu instid0(VALU_DEP_4) | instskip(SKIP_3) | instid1(VALU_DEP_4)
	v_fmamk_f32 v14, v194, 0x3f737871, v150
	v_fmac_f32_e32 v150, 0xbf737871, v194
	v_fmac_f32_e32 v2, 0xbf167918, v5
	;; [unrolled: 1-line block ×4, first 2 shown]
	s_delay_alu instid0(VALU_DEP_4) | instskip(NEXT) | instid1(VALU_DEP_4)
	v_fmac_f32_e32 v150, 0x3f167918, v196
	v_fmac_f32_e32 v2, 0x3e9e377a, v12
	s_delay_alu instid0(VALU_DEP_4) | instskip(SKIP_1) | instid1(VALU_DEP_2)
	v_dual_fmac_f32 v21, 0x3e9e377a, v12 :: v_dual_sub_f32 v12, v162, v6
	v_add_f32_e32 v6, v6, v159
	v_add_f32_e32 v12, v12, v13
	s_delay_alu instid0(VALU_DEP_2) | instskip(SKIP_1) | instid1(VALU_DEP_2)
	v_fma_f32 v22, -0.5, v6, v133
	v_sub_f32_e32 v13, v170, v161
	v_fmamk_f32 v23, v17, 0xbf737871, v22
	v_fmac_f32_e32 v22, 0x3f737871, v17
	s_delay_alu instid0(VALU_DEP_3) | instskip(SKIP_1) | instid1(VALU_DEP_4)
	v_add_f32_e32 v6, v13, v15
	v_sub_f32_e32 v13, v249, v246
	v_fmac_f32_e32 v23, 0x3f167918, v16
	s_delay_alu instid0(VALU_DEP_4) | instskip(NEXT) | instid1(VALU_DEP_4)
	v_fmac_f32_e32 v22, 0xbf167918, v16
	v_fmac_f32_e32 v14, 0x3e9e377a, v6
	s_delay_alu instid0(VALU_DEP_3) | instskip(NEXT) | instid1(VALU_DEP_3)
	v_dual_fmac_f32 v150, 0x3e9e377a, v6 :: v_dual_fmac_f32 v23, 0x3e9e377a, v12
	v_fmac_f32_e32 v22, 0x3e9e377a, v12
	v_add_f32_e32 v12, v160, v246
	s_delay_alu instid0(VALU_DEP_1) | instskip(SKIP_1) | instid1(VALU_DEP_1)
	v_fmac_f32_e32 v129, -0.5, v12
	v_sub_f32_e32 v12, v169, v160
	v_add_f32_e32 v6, v12, v13
	s_delay_alu instid0(VALU_DEP_3) | instskip(SKIP_2) | instid1(VALU_DEP_3)
	v_fmamk_f32 v12, v10, 0xbf737871, v129
	v_fmac_f32_e32 v129, 0x3f737871, v10
	v_mul_f32_e32 v10, 0xbf4f1bbd, v0
	v_fmac_f32_e32 v12, 0x3f167918, v8
	s_delay_alu instid0(VALU_DEP_3) | instskip(SKIP_1) | instid1(VALU_DEP_4)
	v_fmac_f32_e32 v129, 0xbf167918, v8
	v_mul_f32_e32 v8, 0xbf167918, v0
	v_fmac_f32_e32 v10, 0x3f167918, v190
	v_sub_f32_e32 v0, v1, v4
	v_fmac_f32_e32 v12, 0x3e9e377a, v6
	v_fmac_f32_e32 v129, 0x3e9e377a, v6
	v_dual_fmac_f32 v8, 0xbf4f1bbd, v190 :: v_dual_sub_f32 v1, v9, v3
	v_add_f32_e32 v6, v7, v10
	s_delay_alu instid0(VALU_DEP_4) | instskip(SKIP_3) | instid1(VALU_DEP_4)
	v_mul_f32_e32 v24, 0xbf737871, v12
	v_mul_f32_e32 v25, 0x3e9e377a, v12
	v_mul_f32_e32 v26, 0xbf737871, v129
	v_mul_f32_e32 v27, 0xbe9e377a, v129
	v_dual_add_f32 v5, v198, v8 :: v_dual_fmac_f32 v24, 0x3e9e377a, v14
	s_delay_alu instid0(VALU_DEP_4) | instskip(NEXT) | instid1(VALU_DEP_4)
	v_fmac_f32_e32 v25, 0x3f737871, v14
	v_fmac_f32_e32 v26, 0xbe9e377a, v150
	s_delay_alu instid0(VALU_DEP_3) | instskip(NEXT) | instid1(VALU_DEP_3)
	v_dual_fmac_f32 v27, 0x3f737871, v150 :: v_dual_add_f32 v12, v2, v24
	v_dual_sub_f32 v2, v2, v24 :: v_dual_sub_f32 v3, v23, v25
	s_delay_alu instid0(VALU_DEP_3) | instskip(NEXT) | instid1(VALU_DEP_3)
	v_dual_add_f32 v13, v23, v25 :: v_dual_add_f32 v14, v21, v26
	v_add_f32_e32 v15, v22, v27
	v_sub_f32_e32 v24, v155, v167
	ds_store_2addr_b64 v28, v[0:1], v[2:3] offset0:18 offset1:21
	v_dual_sub_f32 v0, v21, v26 :: v_dual_sub_f32 v1, v22, v27
	v_dual_sub_f32 v2, v198, v8 :: v_dual_sub_f32 v3, v7, v10
	ds_store_2addr_b64 v28, v[12:13], v[14:15] offset0:6 offset1:9
	v_dual_sub_f32 v12, v128, v19 :: v_dual_sub_f32 v13, v18, v20
	v_sub_f32_e32 v10, v154, v237
	ds_store_2addr_b64 v28, v[0:1], v[2:3] offset0:24 offset1:27
	v_sub_f32_e32 v0, v148, v155
	v_sub_f32_e32 v1, v245, v167
	ds_store_2addr_b64 v28, v[5:6], v[12:13] offset0:12 offset1:15
	v_sub_f32_e32 v12, v140, v238
	v_sub_f32_e32 v13, v152, v164
	v_add_f32_e32 v3, v143, v153
	v_add_f32_e32 v4, v0, v1
	v_sub_f32_e32 v0, v149, v143
	v_sub_f32_e32 v1, v165, v153
	v_sub_f32_e32 v18, v149, v165
	v_add_f32_e32 v2, v142, v140
	v_fma_f32 v21, -0.5, v3, v135
	v_sub_f32_e32 v22, v148, v245
	v_dual_add_f32 v5, v0, v1 :: v_dual_sub_f32 v0, v154, v166
	v_sub_f32_e32 v1, v237, v173
	v_sub_f32_e32 v20, v143, v153
	v_add_f32_e32 v2, v2, v152
	v_dual_fmamk_f32 v23, v22, 0x3f737871, v21 :: v_dual_sub_f32 v28, v153, v165
	s_delay_alu instid0(VALU_DEP_4)
	v_add_f32_e32 v6, v0, v1
	v_sub_f32_e32 v0, v140, v152
	v_sub_f32_e32 v1, v238, v164
	v_add_f32_e32 v2, v2, v164
	v_fmac_f32_e32 v23, 0x3f167918, v24
	v_fmac_f32_e32 v21, 0xbf737871, v22
	s_delay_alu instid0(VALU_DEP_4) | instskip(SKIP_4) | instid1(VALU_DEP_4)
	v_add_f32_e32 v7, v0, v1
	v_add_f32_e32 v0, v166, v173
	;; [unrolled: 1-line block ×3, first 2 shown]
	v_fmac_f32_e32 v23, 0x3e9e377a, v5
	v_fmac_f32_e32 v21, 0xbf167918, v24
	v_fma_f32 v8, -0.5, v0, v141
	s_delay_alu instid0(VALU_DEP_2) | instskip(NEXT) | instid1(VALU_DEP_2)
	v_dual_add_f32 v0, v152, v164 :: v_dual_fmac_f32 v21, 0x3e9e377a, v5
	v_fmamk_f32 v1, v12, 0xbf737871, v8
	s_delay_alu instid0(VALU_DEP_2) | instskip(SKIP_1) | instid1(VALU_DEP_3)
	v_fma_f32 v9, -0.5, v0, v142
	v_fmac_f32_e32 v8, 0x3f737871, v12
	v_fmac_f32_e32 v1, 0xbf167918, v13
	s_delay_alu instid0(VALU_DEP_3) | instskip(SKIP_1) | instid1(VALU_DEP_4)
	v_fmamk_f32 v0, v10, 0x3f737871, v9
	v_fmac_f32_e32 v9, 0xbf737871, v10
	v_fmac_f32_e32 v8, 0x3f167918, v13
	s_delay_alu instid0(VALU_DEP_4) | instskip(NEXT) | instid1(VALU_DEP_4)
	v_fmac_f32_e32 v1, 0x3e9e377a, v6
	v_fmac_f32_e32 v0, 0x3f167918, v11
	s_delay_alu instid0(VALU_DEP_4) | instskip(NEXT) | instid1(VALU_DEP_4)
	v_fmac_f32_e32 v9, 0xbf167918, v11
	v_fmac_f32_e32 v8, 0x3e9e377a, v6
	s_delay_alu instid0(VALU_DEP_3) | instskip(NEXT) | instid1(VALU_DEP_3)
	v_fmac_f32_e32 v0, 0x3e9e377a, v7
	v_fmac_f32_e32 v9, 0x3e9e377a, v7
	s_delay_alu instid0(VALU_DEP_2) | instskip(SKIP_1) | instid1(VALU_DEP_3)
	v_mul_f32_e32 v14, 0xbf167918, v0
	v_mul_f32_e32 v15, 0x3f4f1bbd, v0
	v_dual_add_f32 v0, v134, v148 :: v_dual_mul_f32 v5, 0xbf4f1bbd, v9
	s_delay_alu instid0(VALU_DEP_3) | instskip(NEXT) | instid1(VALU_DEP_2)
	v_fmac_f32_e32 v14, 0x3f4f1bbd, v1
	v_dual_fmac_f32 v15, 0x3f167918, v1 :: v_dual_add_f32 v0, v0, v155
	v_add_f32_e32 v1, v141, v154
	s_delay_alu instid0(VALU_DEP_4) | instskip(NEXT) | instid1(VALU_DEP_3)
	v_fmac_f32_e32 v5, 0x3f167918, v8
	v_add_f32_e32 v3, v23, v15
	s_delay_alu instid0(VALU_DEP_3) | instskip(NEXT) | instid1(VALU_DEP_1)
	v_dual_add_f32 v0, v0, v167 :: v_dual_add_f32 v1, v1, v166
	v_add_f32_e32 v16, v0, v245
	s_delay_alu instid0(VALU_DEP_2) | instskip(NEXT) | instid1(VALU_DEP_1)
	v_dual_add_f32 v0, v155, v167 :: v_dual_add_f32 v1, v1, v173
	v_fma_f32 v17, -0.5, v0, v134
	v_add_f32_e32 v0, v135, v149
	s_delay_alu instid0(VALU_DEP_2) | instskip(NEXT) | instid1(VALU_DEP_2)
	v_dual_add_f32 v26, v1, v237 :: v_dual_fmamk_f32 v19, v18, 0xbf737871, v17
	v_dual_add_f32 v0, v0, v143 :: v_dual_fmac_f32 v17, 0x3f737871, v18
	s_delay_alu instid0(VALU_DEP_1) | instskip(NEXT) | instid1(VALU_DEP_2)
	v_dual_fmac_f32 v19, 0xbf167918, v20 :: v_dual_add_f32 v0, v0, v153
	v_fmac_f32_e32 v17, 0x3f167918, v20
	s_delay_alu instid0(VALU_DEP_2) | instskip(NEXT) | instid1(VALU_DEP_3)
	v_fmac_f32_e32 v19, 0x3e9e377a, v4
	v_add_f32_e32 v25, v0, v165
	s_delay_alu instid0(VALU_DEP_3) | instskip(SKIP_1) | instid1(VALU_DEP_3)
	v_dual_add_f32 v0, v16, v26 :: v_dual_fmac_f32 v17, 0x3e9e377a, v4
	v_mul_f32_e32 v4, 0xbf167918, v9
	v_dual_add_f32 v2, v19, v14 :: v_dual_add_f32 v1, v25, v27
	s_delay_alu instid0(VALU_DEP_2)
	v_fmac_f32_e32 v4, 0xbf4f1bbd, v8
	s_waitcnt vmcnt(0)
	ds_store_2addr_b64 v35, v[0:1], v[2:3] offset1:3
	v_add_f32_e32 v2, v148, v245
	v_sub_f32_e32 v0, v155, v148
	v_sub_f32_e32 v1, v167, v245
	v_add_f32_e32 v3, v149, v165
	s_delay_alu instid0(VALU_DEP_4) | instskip(SKIP_1) | instid1(VALU_DEP_4)
	v_fma_f32 v29, -0.5, v2, v134
	v_add_f32_e32 v2, v154, v237
	v_add_f32_e32 v0, v0, v1
	v_sub_f32_e32 v1, v143, v149
	v_fmac_f32_e32 v135, -0.5, v3
	v_fmamk_f32 v30, v20, 0x3f737871, v29
	v_fmac_f32_e32 v29, 0xbf737871, v20
	v_sub_f32_e32 v3, v173, v237
	v_fmac_f32_e32 v141, -0.5, v2
	v_sub_f32_e32 v2, v164, v238
	v_fmac_f32_e32 v30, 0xbf167918, v18
	v_dual_fmac_f32 v29, 0x3f167918, v18 :: v_dual_sub_f32 v20, v147, v157
	s_delay_alu instid0(VALU_DEP_2) | instskip(NEXT) | instid1(VALU_DEP_2)
	v_fmac_f32_e32 v30, 0x3e9e377a, v0
	v_fmac_f32_e32 v29, 0x3e9e377a, v0
	v_add_f32_e32 v0, v1, v28
	v_fmamk_f32 v28, v24, 0xbf737871, v135
	v_fmac_f32_e32 v135, 0x3f737871, v24
	v_sub_f32_e32 v1, v166, v154
	s_delay_alu instid0(VALU_DEP_3) | instskip(NEXT) | instid1(VALU_DEP_3)
	v_fmac_f32_e32 v28, 0x3f167918, v22
	v_fmac_f32_e32 v135, 0xbf167918, v22
	s_delay_alu instid0(VALU_DEP_2) | instskip(NEXT) | instid1(VALU_DEP_2)
	v_fmac_f32_e32 v28, 0x3e9e377a, v0
	v_dual_fmac_f32 v135, 0x3e9e377a, v0 :: v_dual_add_f32 v0, v1, v3
	v_add_f32_e32 v1, v140, v238
	v_fmamk_f32 v3, v13, 0x3f737871, v141
	v_fmac_f32_e32 v141, 0xbf737871, v13
	s_delay_alu instid0(VALU_DEP_3) | instskip(SKIP_1) | instid1(VALU_DEP_4)
	v_dual_sub_f32 v13, v168, v172 :: v_dual_fmac_f32 v142, -0.5, v1
	v_sub_f32_e32 v1, v152, v140
	v_fmac_f32_e32 v3, 0xbf167918, v12
	s_delay_alu instid0(VALU_DEP_4) | instskip(NEXT) | instid1(VALU_DEP_2)
	v_dual_fmac_f32 v141, 0x3f167918, v12 :: v_dual_sub_f32 v12, v146, v247
	v_fmac_f32_e32 v3, 0x3e9e377a, v0
	s_delay_alu instid0(VALU_DEP_2) | instskip(SKIP_2) | instid1(VALU_DEP_2)
	v_dual_fmac_f32 v141, 0x3e9e377a, v0 :: v_dual_add_f32 v0, v1, v2
	v_fmamk_f32 v1, v11, 0xbf737871, v142
	v_dual_fmac_f32 v142, 0x3f737871, v11 :: v_dual_mov_b32 v209, v46
	v_fmac_f32_e32 v1, 0x3f167918, v10
	s_delay_alu instid0(VALU_DEP_2) | instskip(SKIP_1) | instid1(VALU_DEP_3)
	v_fmac_f32_e32 v142, 0xbf167918, v10
	v_sub_f32_e32 v10, v145, v180
	v_fmac_f32_e32 v1, 0x3e9e377a, v0
	s_delay_alu instid0(VALU_DEP_3) | instskip(NEXT) | instid1(VALU_DEP_2)
	v_fmac_f32_e32 v142, 0x3e9e377a, v0
	v_mul_f32_e32 v31, 0xbf737871, v1
	v_mul_f32_e32 v32, 0x3e9e377a, v1
	s_delay_alu instid0(VALU_DEP_3) | instskip(SKIP_1) | instid1(VALU_DEP_4)
	v_mul_f32_e32 v33, 0xbf737871, v142
	v_mul_f32_e32 v34, 0xbe9e377a, v142
	v_fmac_f32_e32 v31, 0x3e9e377a, v3
	s_delay_alu instid0(VALU_DEP_4) | instskip(NEXT) | instid1(VALU_DEP_4)
	v_fmac_f32_e32 v32, 0x3f737871, v3
	v_fmac_f32_e32 v33, 0xbe9e377a, v141
	s_delay_alu instid0(VALU_DEP_4) | instskip(NEXT) | instid1(VALU_DEP_3)
	v_fmac_f32_e32 v34, 0x3f737871, v141
	v_dual_add_f32 v0, v30, v31 :: v_dual_add_f32 v1, v28, v32
	s_delay_alu instid0(VALU_DEP_2)
	v_dual_add_f32 v2, v29, v33 :: v_dual_add_f32 v3, v135, v34
	ds_store_2addr_b64 v35, v[0:1], v[2:3] offset0:6 offset1:9
	v_dual_sub_f32 v0, v16, v26 :: v_dual_sub_f32 v1, v25, v27
	v_add_f32_e32 v2, v17, v4
	v_add_f32_e32 v3, v21, v5
	ds_store_2addr_b64 v35, v[2:3], v[0:1] offset0:12 offset1:15
	v_sub_f32_e32 v0, v19, v14
	v_sub_f32_e32 v1, v23, v15
	v_dual_sub_f32 v2, v30, v31 :: v_dual_sub_f32 v3, v28, v32
	v_sub_f32_e32 v19, v139, v175
	v_dual_sub_f32 v23, v144, v156 :: v_dual_add_f32 v30, v146, v247
	v_sub_f32_e32 v31, v172, v247
	ds_store_2addr_b64 v35, v[0:1], v[2:3] offset0:18 offset1:21
	v_dual_sub_f32 v1, v135, v34 :: v_dual_sub_f32 v0, v29, v33
	v_sub_f32_e32 v2, v17, v4
	v_sub_f32_e32 v3, v21, v5
	v_add_f32_e32 v17, v144, v156
	v_sub_f32_e32 v29, v168, v146
	ds_store_2addr_b64 v35, v[0:1], v[2:3] offset0:24 offset1:27
	v_dual_add_f32 v3, v137, v146 :: v_dual_sub_f32 v0, v138, v144
	v_sub_f32_e32 v1, v176, v156
	v_fma_f32 v17, -0.5, v17, v130
	s_delay_alu instid0(VALU_DEP_2) | instskip(SKIP_2) | instid1(VALU_DEP_3)
	v_dual_add_f32 v3, v3, v168 :: v_dual_add_f32 v4, v0, v1
	v_sub_f32_e32 v0, v139, v147
	v_sub_f32_e32 v1, v175, v157
	v_add_f32_e32 v3, v3, v172
	v_fmamk_f32 v21, v19, 0xbf737871, v17
	v_fmac_f32_e32 v17, 0x3f737871, v19
	s_delay_alu instid0(VALU_DEP_4) | instskip(NEXT) | instid1(VALU_DEP_4)
	v_dual_add_f32 v5, v0, v1 :: v_dual_sub_f32 v0, v145, v158
	v_add_f32_e32 v27, v3, v247
	v_sub_f32_e32 v1, v180, v174
	v_sub_f32_e32 v11, v158, v174
	v_fmac_f32_e32 v17, 0x3f167918, v20
	v_fmac_f32_e32 v21, 0xbf167918, v20
	v_sub_f32_e32 v28, v174, v180
	v_add_f32_e32 v6, v0, v1
	v_sub_f32_e32 v0, v146, v168
	v_sub_f32_e32 v1, v247, v172
	v_fmac_f32_e32 v17, 0x3e9e377a, v4
	v_sub_f32_e32 v22, v138, v176
	v_fmac_f32_e32 v21, 0x3e9e377a, v4
	s_delay_alu instid0(VALU_DEP_4) | instskip(NEXT) | instid1(VALU_DEP_1)
	v_dual_add_f32 v7, v0, v1 :: v_dual_add_f32 v0, v158, v174
	v_fma_f32 v8, -0.5, v0, v136
	v_add_f32_e32 v0, v168, v172
	s_delay_alu instid0(VALU_DEP_2) | instskip(NEXT) | instid1(VALU_DEP_2)
	v_fmamk_f32 v1, v12, 0xbf737871, v8
	v_fma_f32 v9, -0.5, v0, v137
	v_fmac_f32_e32 v8, 0x3f737871, v12
	v_dual_mov_b32 v208, v44 :: v_dual_fmac_f32 v137, -0.5, v30
	s_delay_alu instid0(VALU_DEP_4) | instskip(NEXT) | instid1(VALU_DEP_4)
	v_fmac_f32_e32 v1, 0xbf167918, v13
	v_fmamk_f32 v0, v10, 0x3f737871, v9
	v_fmac_f32_e32 v9, 0xbf737871, v10
	v_fmac_f32_e32 v8, 0x3f167918, v13
	s_delay_alu instid0(VALU_DEP_4) | instskip(NEXT) | instid1(VALU_DEP_4)
	v_fmac_f32_e32 v1, 0x3e9e377a, v6
	v_fmac_f32_e32 v0, 0x3f167918, v11
	s_delay_alu instid0(VALU_DEP_4) | instskip(NEXT) | instid1(VALU_DEP_4)
	v_fmac_f32_e32 v9, 0xbf167918, v11
	v_fmac_f32_e32 v8, 0x3e9e377a, v6
	s_delay_alu instid0(VALU_DEP_3) | instskip(NEXT) | instid1(VALU_DEP_3)
	v_fmac_f32_e32 v0, 0x3e9e377a, v7
	v_fmac_f32_e32 v9, 0x3e9e377a, v7
	s_delay_alu instid0(VALU_DEP_2) | instskip(SKIP_1) | instid1(VALU_DEP_3)
	v_mul_f32_e32 v14, 0xbf167918, v0
	v_dual_mul_f32 v15, 0x3f4f1bbd, v0 :: v_dual_add_f32 v0, v147, v157
	v_mul_f32_e32 v4, 0xbf167918, v9
	s_delay_alu instid0(VALU_DEP_3) | instskip(NEXT) | instid1(VALU_DEP_3)
	v_fmac_f32_e32 v14, 0x3f4f1bbd, v1
	v_fmac_f32_e32 v15, 0x3f167918, v1
	s_delay_alu instid0(VALU_DEP_4) | instskip(SKIP_2) | instid1(VALU_DEP_3)
	v_fma_f32 v16, -0.5, v0, v131
	v_dual_add_f32 v0, v130, v138 :: v_dual_add_f32 v1, v131, v139
	v_fmac_f32_e32 v4, 0xbf4f1bbd, v8
	v_fmamk_f32 v24, v22, 0x3f737871, v16
	v_fmac_f32_e32 v16, 0xbf737871, v22
	s_delay_alu instid0(VALU_DEP_4) | instskip(NEXT) | instid1(VALU_DEP_3)
	v_dual_add_f32 v0, v0, v144 :: v_dual_add_f32 v1, v1, v147
	v_fmac_f32_e32 v24, 0x3f167918, v23
	s_delay_alu instid0(VALU_DEP_3) | instskip(NEXT) | instid1(VALU_DEP_3)
	v_fmac_f32_e32 v16, 0xbf167918, v23
	v_dual_add_f32 v0, v0, v156 :: v_dual_add_f32 v1, v1, v157
	s_delay_alu instid0(VALU_DEP_3) | instskip(NEXT) | instid1(VALU_DEP_3)
	v_fmac_f32_e32 v24, 0x3e9e377a, v5
	v_fmac_f32_e32 v16, 0x3e9e377a, v5
	s_delay_alu instid0(VALU_DEP_3) | instskip(NEXT) | instid1(VALU_DEP_4)
	v_dual_mul_f32 v5, 0xbf4f1bbd, v9 :: v_dual_add_f32 v18, v0, v176
	v_add_f32_e32 v25, v1, v175
	s_delay_alu instid0(VALU_DEP_4) | instskip(NEXT) | instid1(VALU_DEP_3)
	v_add_f32_e32 v3, v24, v15
	v_dual_fmac_f32 v5, 0x3f167918, v8 :: v_dual_add_f32 v2, v136, v145
	s_delay_alu instid0(VALU_DEP_1) | instskip(NEXT) | instid1(VALU_DEP_1)
	v_dual_add_f32 v1, v25, v27 :: v_dual_add_f32 v2, v2, v158
	v_add_f32_e32 v2, v2, v174
	s_delay_alu instid0(VALU_DEP_1) | instskip(SKIP_1) | instid1(VALU_DEP_2)
	v_add_f32_e32 v26, v2, v180
	v_add_f32_e32 v2, v21, v14
	;; [unrolled: 1-line block ×3, first 2 shown]
	ds_store_2addr_b64 v36, v[0:1], v[2:3] offset1:3
	v_add_f32_e32 v0, v139, v175
	v_dual_sub_f32 v1, v157, v175 :: v_dual_sub_f32 v2, v158, v145
	v_add_f32_e32 v3, v145, v180
	s_delay_alu instid0(VALU_DEP_3) | instskip(NEXT) | instid1(VALU_DEP_2)
	v_dual_fmac_f32 v131, -0.5, v0 :: v_dual_sub_f32 v0, v147, v139
	v_fmac_f32_e32 v136, -0.5, v3
	s_delay_alu instid0(VALU_DEP_2) | instskip(NEXT) | instid1(VALU_DEP_3)
	v_fmamk_f32 v34, v23, 0xbf737871, v131
	v_dual_fmac_f32 v131, 0x3f737871, v23 :: v_dual_add_f32 v0, v0, v1
	v_dual_add_f32 v1, v2, v28 :: v_dual_add_f32 v2, v29, v31
	v_add_f32_e32 v29, v138, v176
	s_delay_alu instid0(VALU_DEP_3)
	v_fmac_f32_e32 v131, 0xbf167918, v22
	v_fmamk_f32 v30, v13, 0x3f737871, v136
	v_fmac_f32_e32 v136, 0xbf737871, v13
	v_fmac_f32_e32 v34, 0x3f167918, v22
	v_fma_f32 v29, -0.5, v29, v130
	v_fmac_f32_e32 v131, 0x3e9e377a, v0
	v_sub_f32_e32 v3, v144, v138
	v_sub_f32_e32 v28, v156, v176
	v_fmac_f32_e32 v136, 0x3f167918, v12
	v_fmamk_f32 v33, v20, 0x3f737871, v29
	v_fmac_f32_e32 v29, 0xbf737871, v20
	v_fmac_f32_e32 v30, 0xbf167918, v12
	v_add_f32_e32 v3, v3, v28
	v_fmamk_f32 v28, v11, 0xbf737871, v137
	v_fmac_f32_e32 v137, 0x3f737871, v11
	v_fmac_f32_e32 v136, 0x3e9e377a, v1
	;; [unrolled: 1-line block ×6, first 2 shown]
	s_delay_alu instid0(VALU_DEP_4) | instskip(NEXT) | instid1(VALU_DEP_3)
	v_dual_fmac_f32 v30, 0x3e9e377a, v1 :: v_dual_fmac_f32 v29, 0x3e9e377a, v3
	v_dual_fmac_f32 v33, 0x3e9e377a, v3 :: v_dual_fmac_f32 v28, 0x3e9e377a, v2
	s_delay_alu instid0(VALU_DEP_3) | instskip(NEXT) | instid1(VALU_DEP_2)
	v_dual_fmac_f32 v137, 0x3e9e377a, v2 :: v_dual_fmac_f32 v34, 0x3e9e377a, v0
	v_mul_f32_e32 v35, 0xbf737871, v28
	s_delay_alu instid0(VALU_DEP_2) | instskip(SKIP_1) | instid1(VALU_DEP_3)
	v_mul_f32_e32 v31, 0xbe9e377a, v137
	v_mul_f32_e32 v32, 0xbf737871, v137
	v_dual_mul_f32 v28, 0x3e9e377a, v28 :: v_dual_fmac_f32 v35, 0x3e9e377a, v30
	s_delay_alu instid0(VALU_DEP_3) | instskip(NEXT) | instid1(VALU_DEP_3)
	v_fmac_f32_e32 v31, 0x3f737871, v136
	v_fmac_f32_e32 v32, 0xbe9e377a, v136
	s_delay_alu instid0(VALU_DEP_3) | instskip(NEXT) | instid1(VALU_DEP_4)
	v_fmac_f32_e32 v28, 0x3f737871, v30
	v_add_f32_e32 v2, v33, v35
	s_delay_alu instid0(VALU_DEP_3) | instskip(NEXT) | instid1(VALU_DEP_3)
	v_dual_add_f32 v1, v131, v31 :: v_dual_add_f32 v0, v29, v32
	v_add_f32_e32 v3, v34, v28
	ds_store_2addr_b64 v36, v[2:3], v[0:1] offset0:6 offset1:9
	v_dual_sub_f32 v0, v18, v26 :: v_dual_sub_f32 v1, v25, v27
	v_dual_add_f32 v2, v17, v4 :: v_dual_add_f32 v3, v16, v5
	ds_store_2addr_b64 v36, v[2:3], v[0:1] offset0:12 offset1:15
	v_dual_sub_f32 v0, v21, v14 :: v_dual_sub_f32 v1, v24, v15
	v_dual_sub_f32 v2, v33, v35 :: v_dual_sub_f32 v3, v34, v28
	ds_store_2addr_b64 v36, v[0:1], v[2:3] offset0:18 offset1:21
	v_dual_sub_f32 v1, v131, v31 :: v_dual_sub_f32 v0, v29, v32
	v_dual_sub_f32 v2, v17, v4 :: v_dual_sub_f32 v3, v16, v5
	ds_store_2addr_b64 v36, v[0:1], v[2:3] offset0:24 offset1:27
	s_waitcnt lgkmcnt(0)
	s_barrier
	buffer_gl0_inv
	scratch_load_b64 v[4:5], off, off offset:404 ; 8-byte Folded Reload
	ds_load_2addr_b64 v[0:3], v191 offset0:88 offset1:178
	v_mov_b32_e32 v36, v40
	s_waitcnt vmcnt(0) lgkmcnt(0)
	v_mul_f32_e32 v132, v5, v1
	s_delay_alu instid0(VALU_DEP_1) | instskip(SKIP_1) | instid1(VALU_DEP_1)
	v_fmac_f32_e32 v132, v4, v0
	v_mul_f32_e32 v0, v5, v0
	v_fma_f32 v131, v4, v1, -v0
	scratch_load_b64 v[0:1], off, off offset:476 ; 8-byte Folded Reload
	s_waitcnt vmcnt(0)
	v_mul_f32_e32 v128, v1, v3
	v_dual_mov_b32 v5, v1 :: v_dual_mov_b32 v4, v0
	s_delay_alu instid0(VALU_DEP_2) | instskip(NEXT) | instid1(VALU_DEP_2)
	v_fmac_f32_e32 v128, v0, v2
	v_mul_f32_e32 v0, v5, v2
	s_delay_alu instid0(VALU_DEP_1) | instskip(SKIP_4) | instid1(VALU_DEP_1)
	v_fma_f32 v129, v4, v3, -v0
	scratch_load_b64 v[4:5], off, off offset:396 ; 8-byte Folded Reload
	ds_load_2addr_b64 v[0:3], v44 offset0:36 offset1:126
	s_waitcnt lgkmcnt(0)
	v_mul_f32_e32 v130, v127, v1
	v_fmac_f32_e32 v130, v126, v0
	v_mul_f32_e32 v0, v127, v0
	s_delay_alu instid0(VALU_DEP_1) | instskip(SKIP_2) | instid1(VALU_DEP_1)
	v_fma_f32 v127, v126, v1, -v0
	s_waitcnt vmcnt(0)
	v_mul_f32_e32 v135, v5, v3
	v_fmac_f32_e32 v135, v4, v2
	v_mul_f32_e32 v2, v5, v2
	s_delay_alu instid0(VALU_DEP_1) | instskip(SKIP_3) | instid1(VALU_DEP_1)
	v_fma_f32 v134, v4, v3, -v2
	ds_load_2addr_b64 v[0:3], v47 offset0:60 offset1:150
	s_waitcnt lgkmcnt(0)
	v_mul_f32_e32 v126, v125, v3
	v_fmac_f32_e32 v126, v124, v2
	v_mul_f32_e32 v2, v125, v2
	v_mul_f32_e32 v125, v117, v1
	s_delay_alu instid0(VALU_DEP_2) | instskip(NEXT) | instid1(VALU_DEP_2)
	v_fma_f32 v124, v124, v3, -v2
	v_fmac_f32_e32 v125, v116, v0
	v_mul_f32_e32 v0, v117, v0
	s_delay_alu instid0(VALU_DEP_1) | instskip(SKIP_4) | instid1(VALU_DEP_2)
	v_fma_f32 v116, v116, v1, -v0
	ds_load_2addr_b64 v[0:3], v179 offset0:112 offset1:202
	s_waitcnt lgkmcnt(0)
	v_mul_f32_e32 v133, v119, v3
	v_mul_f32_e32 v139, v115, v1
	v_fmac_f32_e32 v133, v118, v2
	s_delay_alu instid0(VALU_DEP_2) | instskip(SKIP_1) | instid1(VALU_DEP_2)
	v_dual_mul_f32 v2, v119, v2 :: v_dual_fmac_f32 v139, v114, v0
	v_mul_f32_e32 v0, v115, v0
	v_fma_f32 v117, v118, v3, -v2
	s_delay_alu instid0(VALU_DEP_2) | instskip(SKIP_4) | instid1(VALU_DEP_2)
	v_fma_f32 v138, v114, v1, -v0
	ds_load_2addr_b64 v[0:3], v236 offset0:8 offset1:98
	s_waitcnt lgkmcnt(0)
	v_mul_f32_e32 v137, v113, v3
	v_mul_f32_e32 v115, v123, v1
	v_fmac_f32_e32 v137, v112, v2
	s_delay_alu instid0(VALU_DEP_2) | instskip(SKIP_1) | instid1(VALU_DEP_2)
	v_dual_mul_f32 v2, v113, v2 :: v_dual_fmac_f32 v115, v122, v0
	v_mul_f32_e32 v0, v123, v0
	v_fma_f32 v136, v112, v3, -v2
	s_delay_alu instid0(VALU_DEP_2) | instskip(SKIP_3) | instid1(VALU_DEP_1)
	v_fma_f32 v114, v122, v1, -v0
	ds_load_2addr_b64 v[0:3], v46 offset0:160 offset1:250
	s_waitcnt lgkmcnt(0)
	v_mul_f32_e32 v113, v121, v3
	v_dual_mul_f32 v118, v105, v1 :: v_dual_fmac_f32 v113, v120, v2
	v_mul_f32_e32 v2, v121, v2
	s_delay_alu instid0(VALU_DEP_2) | instskip(SKIP_1) | instid1(VALU_DEP_3)
	v_fmac_f32_e32 v118, v104, v0
	v_mul_f32_e32 v0, v105, v0
	v_fma_f32 v112, v120, v3, -v2
	s_delay_alu instid0(VALU_DEP_2) | instskip(SKIP_4) | instid1(VALU_DEP_2)
	v_fma_f32 v104, v104, v1, -v0
	ds_load_2addr_b64 v[0:3], v189 offset0:84 offset1:174
	s_waitcnt lgkmcnt(0)
	v_mul_f32_e32 v119, v107, v3
	v_mul_f32_e32 v123, v103, v1
	v_fmac_f32_e32 v119, v106, v2
	s_delay_alu instid0(VALU_DEP_2) | instskip(SKIP_1) | instid1(VALU_DEP_2)
	v_dual_mul_f32 v2, v107, v2 :: v_dual_fmac_f32 v123, v102, v0
	v_mul_f32_e32 v0, v103, v0
	v_fma_f32 v106, v106, v3, -v2
	s_delay_alu instid0(VALU_DEP_2)
	v_fma_f32 v122, v102, v1, -v0
	ds_load_2addr_b64 v[0:3], v185 offset0:108 offset1:198
	v_sub_f32_e32 v28, v106, v117
	s_waitcnt lgkmcnt(0)
	v_dual_sub_f32 v6, v122, v138 :: v_dual_mul_f32 v121, v101, v3
	v_mul_f32_e32 v103, v111, v1
	s_delay_alu instid0(VALU_DEP_2) | instskip(NEXT) | instid1(VALU_DEP_2)
	v_fmac_f32_e32 v121, v100, v2
	v_dual_mul_f32 v2, v101, v2 :: v_dual_fmac_f32 v103, v110, v0
	v_mul_f32_e32 v0, v111, v0
	s_delay_alu instid0(VALU_DEP_3) | instskip(NEXT) | instid1(VALU_DEP_3)
	v_sub_f32_e32 v150, v121, v137
	v_fma_f32 v120, v100, v3, -v2
	s_delay_alu instid0(VALU_DEP_3)
	v_fma_f32 v102, v110, v1, -v0
	ds_load_2addr_b64 v[0:3], v255 offset0:132 offset1:222
	v_sub_f32_e32 v151, v120, v136
	s_waitcnt lgkmcnt(0)
	v_mul_f32_e32 v101, v109, v3
	v_mul_f32_e32 v107, v93, v1
	s_delay_alu instid0(VALU_DEP_2) | instskip(NEXT) | instid1(VALU_DEP_2)
	v_fmac_f32_e32 v101, v108, v2
	v_dual_mul_f32 v2, v109, v2 :: v_dual_fmac_f32 v107, v92, v0
	v_mul_f32_e32 v0, v93, v0
	s_delay_alu instid0(VALU_DEP_2) | instskip(NEXT) | instid1(VALU_DEP_2)
	v_fma_f32 v100, v108, v3, -v2
	v_fma_f32 v105, v92, v1, -v0
	ds_load_2addr_b64 v[0:3], v243 offset0:56 offset1:146
	s_waitcnt lgkmcnt(0)
	v_mul_f32_e32 v109, v95, v3
	s_delay_alu instid0(VALU_DEP_1) | instskip(SKIP_1) | instid1(VALU_DEP_2)
	v_dual_mul_f32 v142, v91, v1 :: v_dual_fmac_f32 v109, v94, v2
	v_mul_f32_e32 v2, v95, v2
	v_fmac_f32_e32 v142, v90, v0
	v_mul_f32_e32 v0, v91, v0
	s_delay_alu instid0(VALU_DEP_4) | instskip(NEXT) | instid1(VALU_DEP_4)
	v_sub_f32_e32 v24, v109, v119
	v_fma_f32 v108, v94, v3, -v2
	s_delay_alu instid0(VALU_DEP_4) | instskip(NEXT) | instid1(VALU_DEP_4)
	v_sub_f32_e32 v161, v142, v123
	v_fma_f32 v141, v90, v1, -v0
	ds_load_2addr_b64 v[0:3], v45 offset0:80 offset1:170
	v_sub_f32_e32 v19, v108, v106
	v_sub_f32_e32 v158, v141, v122
	s_waitcnt lgkmcnt(0)
	v_mul_f32_e32 v140, v89, v3
	v_mul_f32_e32 v92, v99, v1
	s_delay_alu instid0(VALU_DEP_2) | instskip(SKIP_1) | instid1(VALU_DEP_3)
	v_fmac_f32_e32 v140, v88, v2
	v_mul_f32_e32 v2, v89, v2
	v_fmac_f32_e32 v92, v98, v0
	s_delay_alu instid0(VALU_DEP_3) | instskip(NEXT) | instid1(VALU_DEP_3)
	v_dual_mul_f32 v0, v99, v0 :: v_dual_sub_f32 v153, v140, v135
	v_fma_f32 v110, v88, v3, -v2
	s_delay_alu instid0(VALU_DEP_2)
	v_fma_f32 v93, v98, v1, -v0
	ds_load_2addr_b64 v[0:3], v233 offset0:104 offset1:194
	v_sub_f32_e32 v154, v110, v134
	s_waitcnt lgkmcnt(0)
	v_mul_f32_e32 v90, v97, v3
	v_mul_f32_e32 v94, v85, v1
	s_delay_alu instid0(VALU_DEP_2) | instskip(SKIP_1) | instid1(VALU_DEP_3)
	v_fmac_f32_e32 v90, v96, v2
	v_mul_f32_e32 v2, v97, v2
	v_fmac_f32_e32 v94, v84, v0
	v_mul_f32_e32 v0, v85, v0
	s_delay_alu instid0(VALU_DEP_3) | instskip(NEXT) | instid1(VALU_DEP_2)
	v_fma_f32 v91, v96, v3, -v2
	v_fma_f32 v95, v84, v1, -v0
	ds_load_2addr_b64 v[0:3], v187 offset0:28 offset1:118
	s_waitcnt lgkmcnt(0)
	v_mul_f32_e32 v144, v83, v1
	v_mul_f32_e32 v96, v87, v3
	s_delay_alu instid0(VALU_DEP_2) | instskip(SKIP_1) | instid1(VALU_DEP_3)
	v_fmac_f32_e32 v144, v82, v0
	v_mul_f32_e32 v0, v83, v0
	v_fmac_f32_e32 v96, v86, v2
	v_mul_f32_e32 v2, v87, v2
	s_delay_alu instid0(VALU_DEP_4) | instskip(NEXT) | instid1(VALU_DEP_4)
	v_sub_f32_e32 v162, v144, v139
	v_fma_f32 v145, v82, v1, -v0
	ds_load_2addr_b64 v[82:85], v244 offset0:52 offset1:142
	v_fma_f32 v97, v86, v3, -v2
	v_dual_sub_f32 v1, v139, v123 :: v_dual_sub_f32 v22, v96, v133
	v_add_f32_e32 v5, v145, v138
	v_sub_f32_e32 v159, v145, v138
	s_delay_alu instid0(VALU_DEP_4) | instskip(SKIP_3) | instid1(VALU_DEP_2)
	v_sub_f32_e32 v17, v97, v117
	s_waitcnt lgkmcnt(0)
	v_mul_f32_e32 v99, v81, v85
	v_mul_f32_e32 v0, v81, v84
	v_fmac_f32_e32 v99, v80, v84
	s_delay_alu instid0(VALU_DEP_2)
	v_fma_f32 v111, v80, v85, -v0
	ds_load_2addr_b64 v[84:87], v40 offset1:90
	s_waitcnt lgkmcnt(0)
	s_barrier
	buffer_gl0_inv
	scratch_load_b32 v14, off, off offset:312 ; 4-byte Folded Reload
	v_sub_f32_e32 v0, v144, v142
	v_add_f32_e32 v3, v111, v110
	v_add_f32_e32 v2, v99, v140
	scratch_load_b32 v35, off, off offset:412 ; 4-byte Folded Reload
	v_add_f32_e32 v98, v0, v1
	v_dual_sub_f32 v0, v145, v141 :: v_dual_sub_f32 v1, v138, v122
	v_add_f32_e32 v4, v3, v120
	v_dual_add_f32 v2, v2, v121 :: v_dual_add_f32 v3, v141, v122
	s_delay_alu instid0(VALU_DEP_3) | instskip(SKIP_1) | instid1(VALU_DEP_4)
	v_add_f32_e32 v143, v0, v1
	v_sub_f32_e32 v0, v140, v121
	v_dual_sub_f32 v1, v135, v137 :: v_dual_add_f32 v4, v4, v136
	s_delay_alu instid0(VALU_DEP_4) | instskip(SKIP_2) | instid1(VALU_DEP_4)
	v_add_f32_e32 v2, v2, v137
	v_fma_f32 v9, -0.5, v5, v85
	v_fma_f32 v3, -0.5, v3, v85
	v_add_f32_e32 v146, v0, v1
	v_sub_f32_e32 v0, v110, v120
	v_sub_f32_e32 v1, v134, v136
	v_add_f32_e32 v165, v4, v134
	v_add_f32_e32 v4, v144, v139
	;; [unrolled: 1-line block ×3, first 2 shown]
	s_delay_alu instid0(VALU_DEP_4) | instskip(SKIP_1) | instid1(VALU_DEP_4)
	v_dual_sub_f32 v2, v123, v139 :: v_dual_add_f32 v149, v0, v1
	v_add_f32_e32 v0, v121, v137
	v_fma_f32 v7, -0.5, v4, v84
	v_add_f32_e32 v4, v140, v135
	v_fmamk_f32 v10, v161, 0xbf737871, v9
	v_fmac_f32_e32 v9, 0x3f737871, v161
	v_fma_f32 v147, -0.5, v0, v99
	v_add_f32_e32 v0, v120, v136
	v_fmamk_f32 v8, v158, 0x3f737871, v7
	v_fmac_f32_e32 v7, 0xbf737871, v158
	v_fmac_f32_e32 v10, 0x3f167918, v162
	v_fmamk_f32 v1, v154, 0xbf737871, v147
	v_fma_f32 v148, -0.5, v0, v111
	v_fmac_f32_e32 v8, 0xbf167918, v159
	v_fmac_f32_e32 v7, 0x3f167918, v159
	;; [unrolled: 1-line block ×4, first 2 shown]
	v_dual_fmamk_f32 v0, v153, 0x3f737871, v148 :: v_dual_fmac_f32 v99, -0.5, v4
	v_dual_sub_f32 v4, v136, v134 :: v_dual_fmamk_f32 v157, v162, 0x3f737871, v3
	s_delay_alu instid0(VALU_DEP_3) | instskip(NEXT) | instid1(VALU_DEP_3)
	v_fmac_f32_e32 v1, 0x3e9e377a, v146
	v_fmac_f32_e32 v0, 0x3f167918, v150
	s_delay_alu instid0(VALU_DEP_4)
	v_fmamk_f32 v5, v151, 0x3f737871, v99
	v_fmac_f32_e32 v99, 0xbf737871, v151
	v_fmac_f32_e32 v157, 0x3f167918, v161
	;; [unrolled: 1-line block ×8, first 2 shown]
	v_mul_f32_e32 v152, 0xbf167918, v0
	v_mul_f32_e32 v155, 0x3f4f1bbd, v0
	v_add_f32_e32 v0, v84, v144
	v_fmac_f32_e32 v148, 0xbf167918, v150
	v_fmac_f32_e32 v3, 0xbf737871, v162
	;; [unrolled: 1-line block ×4, first 2 shown]
	v_dual_add_f32 v1, v0, v142 :: v_dual_add_f32 v0, v142, v123
	v_fmac_f32_e32 v147, 0x3f167918, v151
	s_delay_alu instid0(VALU_DEP_3) | instskip(NEXT) | instid1(VALU_DEP_3)
	v_dual_fmac_f32 v148, 0x3e9e377a, v149 :: v_dual_add_f32 v89, v157, v155
	v_add_f32_e32 v1, v1, v123
	s_delay_alu instid0(VALU_DEP_4) | instskip(SKIP_2) | instid1(VALU_DEP_4)
	v_fma_f32 v0, -0.5, v0, v84
	v_fmac_f32_e32 v3, 0xbf167918, v161
	v_fmac_f32_e32 v147, 0x3e9e377a, v146
	v_dual_mul_f32 v15, 0xbf4f1bbd, v148 :: v_dual_add_f32 v160, v1, v139
	s_delay_alu instid0(VALU_DEP_4) | instskip(SKIP_1) | instid1(VALU_DEP_3)
	v_dual_add_f32 v1, v85, v145 :: v_dual_fmamk_f32 v156, v159, 0xbf737871, v0
	v_fmac_f32_e32 v0, 0x3f737871, v159
	v_dual_fmac_f32 v3, 0x3e9e377a, v143 :: v_dual_add_f32 v80, v160, v164
	s_delay_alu instid0(VALU_DEP_3) | instskip(NEXT) | instid1(VALU_DEP_3)
	v_dual_add_f32 v1, v1, v141 :: v_dual_fmac_f32 v156, 0xbf167918, v158
	v_dual_fmac_f32 v0, 0x3f167918, v158 :: v_dual_fmac_f32 v15, 0x3f167918, v147
	s_delay_alu instid0(VALU_DEP_2) | instskip(NEXT) | instid1(VALU_DEP_3)
	v_add_f32_e32 v1, v1, v122
	v_fmac_f32_e32 v156, 0x3e9e377a, v98
	s_delay_alu instid0(VALU_DEP_3) | instskip(NEXT) | instid1(VALU_DEP_3)
	v_fmac_f32_e32 v0, 0x3e9e377a, v98
	v_add_f32_e32 v163, v1, v138
	v_sub_f32_e32 v1, v142, v144
	s_delay_alu instid0(VALU_DEP_2) | instskip(NEXT) | instid1(VALU_DEP_2)
	v_dual_add_f32 v88, v156, v152 :: v_dual_add_f32 v81, v163, v165
	v_add_f32_e32 v1, v1, v2
	v_sub_f32_e32 v2, v141, v145
	s_delay_alu instid0(VALU_DEP_2) | instskip(SKIP_1) | instid1(VALU_DEP_3)
	v_fmac_f32_e32 v8, 0x3e9e377a, v1
	v_fmac_f32_e32 v7, 0x3e9e377a, v1
	v_dual_add_f32 v1, v2, v6 :: v_dual_sub_f32 v2, v121, v140
	v_sub_f32_e32 v6, v137, v135
	s_delay_alu instid0(VALU_DEP_2) | instskip(SKIP_1) | instid1(VALU_DEP_3)
	v_fmac_f32_e32 v10, 0x3e9e377a, v1
	v_fmac_f32_e32 v9, 0x3e9e377a, v1
	v_add_f32_e32 v1, v2, v6
	s_delay_alu instid0(VALU_DEP_1) | instskip(NEXT) | instid1(VALU_DEP_1)
	v_dual_add_f32 v2, v110, v134 :: v_dual_fmac_f32 v5, 0x3e9e377a, v1
	v_fmac_f32_e32 v111, -0.5, v2
	v_dual_sub_f32 v2, v120, v110 :: v_dual_fmac_f32 v99, 0x3e9e377a, v1
	s_delay_alu instid0(VALU_DEP_1) | instskip(NEXT) | instid1(VALU_DEP_3)
	v_add_f32_e32 v1, v2, v4
	v_fmamk_f32 v2, v150, 0xbf737871, v111
	v_fmac_f32_e32 v111, 0x3f737871, v150
	s_delay_alu instid0(VALU_DEP_2) | instskip(NEXT) | instid1(VALU_DEP_2)
	v_fmac_f32_e32 v2, 0x3f167918, v153
	v_fmac_f32_e32 v111, 0xbf167918, v153
	s_delay_alu instid0(VALU_DEP_2) | instskip(NEXT) | instid1(VALU_DEP_2)
	v_fmac_f32_e32 v2, 0x3e9e377a, v1
	v_fmac_f32_e32 v111, 0x3e9e377a, v1
	s_delay_alu instid0(VALU_DEP_2) | instskip(SKIP_1) | instid1(VALU_DEP_3)
	v_mul_f32_e32 v6, 0xbf737871, v2
	v_mul_f32_e32 v11, 0x3e9e377a, v2
	;; [unrolled: 1-line block ×4, first 2 shown]
	s_delay_alu instid0(VALU_DEP_4) | instskip(NEXT) | instid1(VALU_DEP_4)
	v_fmac_f32_e32 v6, 0x3e9e377a, v5
	v_fmac_f32_e32 v11, 0x3f737871, v5
	s_delay_alu instid0(VALU_DEP_4) | instskip(NEXT) | instid1(VALU_DEP_4)
	v_fmac_f32_e32 v12, 0xbe9e377a, v99
	v_fmac_f32_e32 v13, 0x3f737871, v99
	v_mov_b32_e32 v99, v36
	s_delay_alu instid0(VALU_DEP_4) | instskip(NEXT) | instid1(VALU_DEP_3)
	v_dual_add_f32 v1, v8, v6 :: v_dual_add_f32 v2, v10, v11
	v_dual_add_f32 v4, v7, v12 :: v_dual_add_f32 v5, v9, v13
	s_waitcnt vmcnt(1)
	ds_store_2addr_b64 v14, v[80:81], v[88:89] offset1:30
	ds_store_2addr_b64 v14, v[1:2], v[4:5] offset0:60 offset1:90
	v_mov_b32_e32 v16, v14
	v_mul_f32_e32 v14, 0xbf167918, v148
	v_dual_sub_f32 v1, v160, v164 :: v_dual_sub_f32 v2, v163, v165
	v_add_f32_e32 v5, v3, v15
	s_delay_alu instid0(VALU_DEP_3) | instskip(NEXT) | instid1(VALU_DEP_1)
	v_fmac_f32_e32 v14, 0xbf4f1bbd, v147
	v_add_f32_e32 v4, v0, v14
	ds_store_2addr_b64 v16, v[4:5], v[1:2] offset0:120 offset1:150
	v_dual_sub_f32 v1, v156, v152 :: v_dual_sub_f32 v2, v157, v155
	v_dual_sub_f32 v4, v8, v6 :: v_dual_sub_f32 v5, v10, v11
	;; [unrolled: 1-line block ×3, first 2 shown]
	ds_store_2addr_b64 v16, v[1:2], v[4:5] offset0:180 offset1:210
	v_sub_f32_e32 v4, v0, v14
	scratch_load_b32 v0, off, off offset:272 ; 4-byte Folded Reload
	v_dual_sub_f32 v1, v7, v12 :: v_dual_sub_f32 v2, v9, v13
	v_sub_f32_e32 v5, v3, v15
	v_dual_sub_f32 v12, v105, v131 :: v_dual_sub_f32 v13, v104, v116
	v_add_f32_e32 v3, v108, v106
	s_delay_alu instid0(VALU_DEP_1) | instskip(NEXT) | instid1(VALU_DEP_1)
	v_fma_f32 v21, -0.5, v3, v87
	v_fmamk_f32 v23, v22, 0x3f737871, v21
	v_fmac_f32_e32 v21, 0xbf737871, v22
	s_delay_alu instid0(VALU_DEP_2) | instskip(NEXT) | instid1(VALU_DEP_2)
	v_fmac_f32_e32 v23, 0x3f167918, v24
	v_fmac_f32_e32 v21, 0xbf167918, v24
	s_waitcnt vmcnt(0)
	ds_store_2addr_b64 v0, v[1:2], v[4:5] offset0:112 offset1:142
	v_dual_sub_f32 v0, v96, v109 :: v_dual_sub_f32 v1, v133, v119
	v_add_f32_e32 v2, v95, v105
	s_delay_alu instid0(VALU_DEP_2) | instskip(SKIP_1) | instid1(VALU_DEP_3)
	v_add_f32_e32 v4, v0, v1
	v_sub_f32_e32 v0, v97, v108
	v_dual_sub_f32 v1, v117, v106 :: v_dual_add_f32 v2, v2, v104
	s_delay_alu instid0(VALU_DEP_1) | instskip(NEXT) | instid1(VALU_DEP_2)
	v_dual_add_f32 v5, v0, v1 :: v_dual_sub_f32 v0, v107, v118
	v_dual_sub_f32 v1, v132, v125 :: v_dual_add_f32 v2, v2, v116
	s_delay_alu instid0(VALU_DEP_2) | instskip(SKIP_1) | instid1(VALU_DEP_3)
	v_fmac_f32_e32 v23, 0x3e9e377a, v5
	v_fmac_f32_e32 v21, 0x3e9e377a, v5
	v_add_f32_e32 v6, v0, v1
	v_sub_f32_e32 v0, v105, v104
	v_sub_f32_e32 v1, v131, v116
	v_add_f32_e32 v27, v2, v131
	s_delay_alu instid0(VALU_DEP_2) | instskip(SKIP_1) | instid1(VALU_DEP_1)
	v_add_f32_e32 v7, v0, v1
	v_add_f32_e32 v0, v118, v125
	v_fma_f32 v8, -0.5, v0, v94
	v_add_f32_e32 v0, v104, v116
	s_delay_alu instid0(VALU_DEP_2) | instskip(NEXT) | instid1(VALU_DEP_2)
	v_fmamk_f32 v1, v12, 0xbf737871, v8
	v_fma_f32 v9, -0.5, v0, v95
	v_fmac_f32_e32 v8, 0x3f737871, v12
	s_delay_alu instid0(VALU_DEP_3) | instskip(NEXT) | instid1(VALU_DEP_3)
	v_fmac_f32_e32 v1, 0xbf167918, v13
	v_fmamk_f32 v0, v10, 0x3f737871, v9
	v_fmac_f32_e32 v9, 0xbf737871, v10
	s_delay_alu instid0(VALU_DEP_4) | instskip(NEXT) | instid1(VALU_DEP_4)
	v_fmac_f32_e32 v8, 0x3f167918, v13
	v_fmac_f32_e32 v1, 0x3e9e377a, v6
	s_delay_alu instid0(VALU_DEP_4) | instskip(NEXT) | instid1(VALU_DEP_4)
	v_fmac_f32_e32 v0, 0x3f167918, v11
	v_fmac_f32_e32 v9, 0xbf167918, v11
	s_delay_alu instid0(VALU_DEP_4) | instskip(NEXT) | instid1(VALU_DEP_3)
	v_fmac_f32_e32 v8, 0x3e9e377a, v6
	v_fmac_f32_e32 v0, 0x3e9e377a, v7
	s_delay_alu instid0(VALU_DEP_3) | instskip(NEXT) | instid1(VALU_DEP_2)
	v_fmac_f32_e32 v9, 0x3e9e377a, v7
	v_mul_f32_e32 v14, 0xbf167918, v0
	v_mul_f32_e32 v15, 0x3f4f1bbd, v0
	s_delay_alu instid0(VALU_DEP_3) | instskip(NEXT) | instid1(VALU_DEP_3)
	v_dual_add_f32 v0, v86, v96 :: v_dual_mul_f32 v5, 0xbf4f1bbd, v9
	v_fmac_f32_e32 v14, 0x3f4f1bbd, v1
	s_delay_alu instid0(VALU_DEP_3) | instskip(NEXT) | instid1(VALU_DEP_3)
	v_fmac_f32_e32 v15, 0x3f167918, v1
	v_dual_add_f32 v0, v0, v109 :: v_dual_add_f32 v1, v109, v119
	s_delay_alu instid0(VALU_DEP_4) | instskip(NEXT) | instid1(VALU_DEP_3)
	v_fmac_f32_e32 v5, 0x3f167918, v8
	v_add_f32_e32 v3, v23, v15
	s_delay_alu instid0(VALU_DEP_3) | instskip(NEXT) | instid1(VALU_DEP_4)
	v_add_f32_e32 v0, v0, v119
	v_fma_f32 v16, -0.5, v1, v86
	s_delay_alu instid0(VALU_DEP_2) | instskip(SKIP_1) | instid1(VALU_DEP_3)
	v_dual_add_f32 v1, v94, v107 :: v_dual_add_f32 v20, v0, v133
	v_add_f32_e32 v0, v87, v97
	v_fmamk_f32 v18, v17, 0xbf737871, v16
	s_delay_alu instid0(VALU_DEP_3) | instskip(NEXT) | instid1(VALU_DEP_3)
	v_dual_add_f32 v1, v1, v118 :: v_dual_fmac_f32 v16, 0x3f737871, v17
	v_add_f32_e32 v0, v0, v108
	s_delay_alu instid0(VALU_DEP_2) | instskip(NEXT) | instid1(VALU_DEP_3)
	v_dual_fmac_f32 v18, 0xbf167918, v19 :: v_dual_add_f32 v1, v1, v125
	v_fmac_f32_e32 v16, 0x3f167918, v19
	s_delay_alu instid0(VALU_DEP_3) | instskip(NEXT) | instid1(VALU_DEP_3)
	v_add_f32_e32 v0, v0, v106
	v_fmac_f32_e32 v18, 0x3e9e377a, v4
	s_delay_alu instid0(VALU_DEP_4) | instskip(NEXT) | instid1(VALU_DEP_4)
	v_add_f32_e32 v26, v1, v132
	v_fmac_f32_e32 v16, 0x3e9e377a, v4
	v_mul_f32_e32 v4, 0xbf167918, v9
	s_delay_alu instid0(VALU_DEP_4) | instskip(NEXT) | instid1(VALU_DEP_4)
	v_dual_add_f32 v25, v0, v117 :: v_dual_add_f32 v2, v18, v14
	v_add_f32_e32 v0, v20, v26
	s_delay_alu instid0(VALU_DEP_2) | instskip(SKIP_4) | instid1(VALU_DEP_3)
	v_dual_fmac_f32 v4, 0xbf4f1bbd, v8 :: v_dual_add_f32 v1, v25, v27
	ds_store_2addr_b64 v35, v[0:1], v[2:3] offset1:30
	v_add_f32_e32 v2, v96, v133
	v_dual_sub_f32 v0, v109, v96 :: v_dual_sub_f32 v1, v119, v133
	v_add_f32_e32 v3, v97, v117
	v_fma_f32 v29, -0.5, v2, v86
	v_add_f32_e32 v2, v107, v132
	s_delay_alu instid0(VALU_DEP_4)
	v_add_f32_e32 v0, v0, v1
	v_sub_f32_e32 v1, v108, v97
	v_fmac_f32_e32 v87, -0.5, v3
	v_fmamk_f32 v30, v19, 0x3f737871, v29
	v_fmac_f32_e32 v29, 0xbf737871, v19
	v_dual_sub_f32 v3, v125, v132 :: v_dual_fmac_f32 v94, -0.5, v2
	v_sub_f32_e32 v2, v116, v131
	s_delay_alu instid0(VALU_DEP_4) | instskip(NEXT) | instid1(VALU_DEP_4)
	v_fmac_f32_e32 v30, 0xbf167918, v17
	v_fmac_f32_e32 v29, 0x3f167918, v17
	v_sub_f32_e32 v17, v93, v127
	s_delay_alu instid0(VALU_DEP_3) | instskip(NEXT) | instid1(VALU_DEP_3)
	v_dual_sub_f32 v19, v102, v114 :: v_dual_fmac_f32 v30, 0x3e9e377a, v0
	v_fmac_f32_e32 v29, 0x3e9e377a, v0
	v_add_f32_e32 v0, v1, v28
	v_fmamk_f32 v28, v24, 0xbf737871, v87
	v_fmac_f32_e32 v87, 0x3f737871, v24
	v_sub_f32_e32 v1, v118, v107
	v_sub_f32_e32 v24, v103, v115
	s_delay_alu instid0(VALU_DEP_4) | instskip(NEXT) | instid1(VALU_DEP_4)
	v_fmac_f32_e32 v28, 0x3f167918, v22
	v_fmac_f32_e32 v87, 0xbf167918, v22
	v_sub_f32_e32 v22, v92, v130
	s_delay_alu instid0(VALU_DEP_3) | instskip(NEXT) | instid1(VALU_DEP_3)
	v_fmac_f32_e32 v28, 0x3e9e377a, v0
	v_dual_fmac_f32 v87, 0x3e9e377a, v0 :: v_dual_add_f32 v0, v1, v3
	v_add_f32_e32 v1, v105, v131
	v_fmamk_f32 v3, v13, 0x3f737871, v94
	v_dual_fmac_f32 v94, 0xbf737871, v13 :: v_dual_sub_f32 v13, v112, v124
	s_delay_alu instid0(VALU_DEP_3) | instskip(SKIP_1) | instid1(VALU_DEP_4)
	v_fmac_f32_e32 v95, -0.5, v1
	v_sub_f32_e32 v1, v104, v105
	v_fmac_f32_e32 v3, 0xbf167918, v12
	s_delay_alu instid0(VALU_DEP_4) | instskip(NEXT) | instid1(VALU_DEP_2)
	v_fmac_f32_e32 v94, 0x3f167918, v12
	v_dual_sub_f32 v12, v100, v129 :: v_dual_fmac_f32 v3, 0x3e9e377a, v0
	s_delay_alu instid0(VALU_DEP_2) | instskip(SKIP_3) | instid1(VALU_DEP_3)
	v_fmac_f32_e32 v94, 0x3e9e377a, v0
	v_dual_add_f32 v0, v1, v2 :: v_dual_fmamk_f32 v1, v11, 0xbf737871, v95
	v_fmac_f32_e32 v95, 0x3f737871, v11
	v_sub_f32_e32 v11, v113, v126
	v_fmac_f32_e32 v1, 0x3f167918, v10
	s_delay_alu instid0(VALU_DEP_3) | instskip(NEXT) | instid1(VALU_DEP_2)
	v_dual_fmac_f32 v95, 0xbf167918, v10 :: v_dual_sub_f32 v10, v101, v128
	v_fmac_f32_e32 v1, 0x3e9e377a, v0
	s_delay_alu instid0(VALU_DEP_2) | instskip(NEXT) | instid1(VALU_DEP_2)
	v_fmac_f32_e32 v95, 0x3e9e377a, v0
	v_mul_f32_e32 v31, 0xbf737871, v1
	v_mul_f32_e32 v32, 0x3e9e377a, v1
	s_delay_alu instid0(VALU_DEP_3) | instskip(SKIP_1) | instid1(VALU_DEP_4)
	v_mul_f32_e32 v33, 0xbf737871, v95
	v_dual_mul_f32 v34, 0xbe9e377a, v95 :: v_dual_mov_b32 v95, v47
	v_fmac_f32_e32 v31, 0x3e9e377a, v3
	s_delay_alu instid0(VALU_DEP_4) | instskip(NEXT) | instid1(VALU_DEP_4)
	v_fmac_f32_e32 v32, 0x3f737871, v3
	v_fmac_f32_e32 v33, 0xbe9e377a, v94
	s_delay_alu instid0(VALU_DEP_4) | instskip(NEXT) | instid1(VALU_DEP_3)
	v_fmac_f32_e32 v34, 0x3f737871, v94
	v_dual_add_f32 v0, v30, v31 :: v_dual_add_f32 v1, v28, v32
	s_delay_alu instid0(VALU_DEP_2)
	v_dual_add_f32 v2, v29, v33 :: v_dual_add_f32 v3, v87, v34
	ds_store_2addr_b64 v35, v[0:1], v[2:3] offset0:60 offset1:90
	v_dual_sub_f32 v0, v20, v26 :: v_dual_sub_f32 v1, v25, v27
	v_dual_add_f32 v2, v16, v4 :: v_dual_add_f32 v3, v21, v5
	ds_store_2addr_b64 v35, v[2:3], v[0:1] offset0:120 offset1:150
	v_dual_sub_f32 v0, v18, v14 :: v_dual_sub_f32 v1, v23, v15
	v_dual_sub_f32 v2, v30, v31 :: v_dual_sub_f32 v3, v28, v32
	v_sub_f32_e32 v28, v114, v127
	ds_store_2addr_b64 v35, v[0:1], v[2:3] offset0:180 offset1:210
	v_sub_f32_e32 v2, v16, v4
	s_clause 0x1
	scratch_load_b32 v4, off, off offset:268
	scratch_load_b32 v35, off, off offset:416
	v_dual_sub_f32 v1, v87, v34 :: v_dual_sub_f32 v0, v29, v33
	v_sub_f32_e32 v3, v21, v5
	s_waitcnt vmcnt(1)
	ds_store_2addr_b64 v4, v[0:1], v[2:3] offset0:112 offset1:142
	v_sub_f32_e32 v0, v92, v103
	v_sub_f32_e32 v1, v130, v115
	v_dual_add_f32 v3, v102, v114 :: v_dual_add_f32 v2, v91, v100
	s_delay_alu instid0(VALU_DEP_2) | instskip(SKIP_2) | instid1(VALU_DEP_4)
	v_add_f32_e32 v4, v0, v1
	v_sub_f32_e32 v0, v93, v102
	v_sub_f32_e32 v1, v127, v114
	v_fma_f32 v21, -0.5, v3, v83
	s_delay_alu instid0(VALU_DEP_2) | instskip(SKIP_1) | instid1(VALU_DEP_3)
	v_dual_add_f32 v2, v2, v112 :: v_dual_add_f32 v5, v0, v1
	v_dual_sub_f32 v0, v101, v113 :: v_dual_sub_f32 v1, v128, v126
	v_fmamk_f32 v23, v22, 0x3f737871, v21
	s_delay_alu instid0(VALU_DEP_3) | instskip(NEXT) | instid1(VALU_DEP_3)
	v_dual_add_f32 v2, v2, v124 :: v_dual_fmac_f32 v21, 0xbf737871, v22
	v_add_f32_e32 v6, v0, v1
	v_sub_f32_e32 v0, v100, v112
	v_sub_f32_e32 v1, v129, v124
	v_fmac_f32_e32 v23, 0x3f167918, v24
	v_add_f32_e32 v27, v2, v129
	v_fmac_f32_e32 v21, 0xbf167918, v24
	s_delay_alu instid0(VALU_DEP_4) | instskip(NEXT) | instid1(VALU_DEP_4)
	v_dual_add_f32 v7, v0, v1 :: v_dual_add_f32 v0, v113, v126
	v_fmac_f32_e32 v23, 0x3e9e377a, v5
	s_delay_alu instid0(VALU_DEP_3) | instskip(NEXT) | instid1(VALU_DEP_3)
	v_fmac_f32_e32 v21, 0x3e9e377a, v5
	v_fma_f32 v8, -0.5, v0, v90
	v_add_f32_e32 v0, v112, v124
	s_delay_alu instid0(VALU_DEP_2) | instskip(NEXT) | instid1(VALU_DEP_2)
	v_fmamk_f32 v1, v12, 0xbf737871, v8
	v_fma_f32 v9, -0.5, v0, v91
	v_fmac_f32_e32 v8, 0x3f737871, v12
	s_delay_alu instid0(VALU_DEP_3) | instskip(NEXT) | instid1(VALU_DEP_3)
	v_fmac_f32_e32 v1, 0xbf167918, v13
	v_fmamk_f32 v0, v10, 0x3f737871, v9
	v_fmac_f32_e32 v9, 0xbf737871, v10
	s_delay_alu instid0(VALU_DEP_4) | instskip(NEXT) | instid1(VALU_DEP_4)
	v_fmac_f32_e32 v8, 0x3f167918, v13
	v_fmac_f32_e32 v1, 0x3e9e377a, v6
	s_delay_alu instid0(VALU_DEP_4) | instskip(NEXT) | instid1(VALU_DEP_4)
	v_fmac_f32_e32 v0, 0x3f167918, v11
	v_fmac_f32_e32 v9, 0xbf167918, v11
	s_delay_alu instid0(VALU_DEP_4) | instskip(NEXT) | instid1(VALU_DEP_3)
	v_fmac_f32_e32 v8, 0x3e9e377a, v6
	v_fmac_f32_e32 v0, 0x3e9e377a, v7
	s_delay_alu instid0(VALU_DEP_3) | instskip(NEXT) | instid1(VALU_DEP_2)
	v_fmac_f32_e32 v9, 0x3e9e377a, v7
	v_mul_f32_e32 v14, 0xbf167918, v0
	v_mul_f32_e32 v15, 0x3f4f1bbd, v0
	s_delay_alu instid0(VALU_DEP_3) | instskip(NEXT) | instid1(VALU_DEP_3)
	v_dual_add_f32 v0, v82, v92 :: v_dual_mul_f32 v5, 0xbf4f1bbd, v9
	v_fmac_f32_e32 v14, 0x3f4f1bbd, v1
	s_delay_alu instid0(VALU_DEP_2) | instskip(SKIP_1) | instid1(VALU_DEP_4)
	v_dual_fmac_f32 v15, 0x3f167918, v1 :: v_dual_add_f32 v0, v0, v103
	v_add_f32_e32 v1, v103, v115
	v_fmac_f32_e32 v5, 0x3f167918, v8
	s_delay_alu instid0(VALU_DEP_3) | instskip(NEXT) | instid1(VALU_DEP_4)
	v_add_f32_e32 v3, v23, v15
	v_add_f32_e32 v0, v0, v115
	s_delay_alu instid0(VALU_DEP_4) | instskip(NEXT) | instid1(VALU_DEP_2)
	v_fma_f32 v16, -0.5, v1, v82
	v_dual_add_f32 v1, v90, v101 :: v_dual_add_f32 v20, v0, v130
	v_add_f32_e32 v0, v83, v93
	s_delay_alu instid0(VALU_DEP_3) | instskip(NEXT) | instid1(VALU_DEP_3)
	v_fmamk_f32 v18, v17, 0xbf737871, v16
	v_add_f32_e32 v1, v1, v113
	v_fmac_f32_e32 v16, 0x3f737871, v17
	s_delay_alu instid0(VALU_DEP_4) | instskip(NEXT) | instid1(VALU_DEP_3)
	v_add_f32_e32 v0, v0, v102
	v_dual_fmac_f32 v18, 0xbf167918, v19 :: v_dual_add_f32 v1, v1, v126
	s_delay_alu instid0(VALU_DEP_3) | instskip(NEXT) | instid1(VALU_DEP_3)
	v_fmac_f32_e32 v16, 0x3f167918, v19
	v_add_f32_e32 v0, v0, v114
	s_delay_alu instid0(VALU_DEP_3) | instskip(NEXT) | instid1(VALU_DEP_4)
	v_fmac_f32_e32 v18, 0x3e9e377a, v4
	v_add_f32_e32 v26, v1, v128
	s_delay_alu instid0(VALU_DEP_4) | instskip(NEXT) | instid1(VALU_DEP_4)
	v_fmac_f32_e32 v16, 0x3e9e377a, v4
	v_dual_mul_f32 v4, 0xbf167918, v9 :: v_dual_add_f32 v25, v0, v127
	s_delay_alu instid0(VALU_DEP_4) | instskip(NEXT) | instid1(VALU_DEP_4)
	v_add_f32_e32 v2, v18, v14
	v_add_f32_e32 v0, v20, v26
	s_delay_alu instid0(VALU_DEP_3)
	v_dual_fmac_f32 v4, 0xbf4f1bbd, v8 :: v_dual_add_f32 v1, v25, v27
	s_waitcnt vmcnt(0)
	ds_store_2addr_b64 v35, v[0:1], v[2:3] offset1:30
	v_add_f32_e32 v2, v92, v130
	v_sub_f32_e32 v0, v103, v92
	v_sub_f32_e32 v1, v115, v130
	v_add_f32_e32 v3, v93, v127
	s_delay_alu instid0(VALU_DEP_4) | instskip(SKIP_1) | instid1(VALU_DEP_4)
	v_fma_f32 v29, -0.5, v2, v82
	v_add_f32_e32 v2, v101, v128
	v_add_f32_e32 v0, v0, v1
	v_sub_f32_e32 v1, v102, v93
	v_fmac_f32_e32 v83, -0.5, v3
	v_fmamk_f32 v30, v19, 0x3f737871, v29
	v_fmac_f32_e32 v29, 0xbf737871, v19
	v_dual_sub_f32 v3, v126, v128 :: v_dual_fmac_f32 v90, -0.5, v2
	v_sub_f32_e32 v2, v124, v129
	s_delay_alu instid0(VALU_DEP_4) | instskip(NEXT) | instid1(VALU_DEP_4)
	v_fmac_f32_e32 v30, 0xbf167918, v17
	v_fmac_f32_e32 v29, 0x3f167918, v17
	s_delay_alu instid0(VALU_DEP_2) | instskip(NEXT) | instid1(VALU_DEP_2)
	v_dual_mov_b32 v93, v37 :: v_dual_fmac_f32 v30, 0x3e9e377a, v0
	v_fmac_f32_e32 v29, 0x3e9e377a, v0
	v_add_f32_e32 v0, v1, v28
	v_fmamk_f32 v28, v24, 0xbf737871, v83
	v_fmac_f32_e32 v83, 0x3f737871, v24
	s_delay_alu instid0(VALU_DEP_2) | instskip(NEXT) | instid1(VALU_DEP_2)
	v_dual_sub_f32 v1, v113, v101 :: v_dual_fmac_f32 v28, 0x3f167918, v22
	v_fmac_f32_e32 v83, 0xbf167918, v22
	s_delay_alu instid0(VALU_DEP_2) | instskip(NEXT) | instid1(VALU_DEP_2)
	v_fmac_f32_e32 v28, 0x3e9e377a, v0
	v_dual_fmac_f32 v83, 0x3e9e377a, v0 :: v_dual_add_f32 v0, v1, v3
	v_add_f32_e32 v1, v100, v129
	v_fmamk_f32 v3, v13, 0x3f737871, v90
	v_fmac_f32_e32 v90, 0xbf737871, v13
	s_delay_alu instid0(VALU_DEP_3) | instskip(SKIP_1) | instid1(VALU_DEP_4)
	v_fmac_f32_e32 v91, -0.5, v1
	v_sub_f32_e32 v1, v112, v100
	v_fmac_f32_e32 v3, 0xbf167918, v12
	s_delay_alu instid0(VALU_DEP_4) | instskip(NEXT) | instid1(VALU_DEP_2)
	v_fmac_f32_e32 v90, 0x3f167918, v12
	v_fmac_f32_e32 v3, 0x3e9e377a, v0
	s_delay_alu instid0(VALU_DEP_2) | instskip(SKIP_2) | instid1(VALU_DEP_2)
	v_fmac_f32_e32 v90, 0x3e9e377a, v0
	v_dual_add_f32 v0, v1, v2 :: v_dual_fmamk_f32 v1, v11, 0xbf737871, v91
	v_fmac_f32_e32 v91, 0x3f737871, v11
	v_fmac_f32_e32 v1, 0x3f167918, v10
	s_delay_alu instid0(VALU_DEP_2) | instskip(NEXT) | instid1(VALU_DEP_2)
	v_fmac_f32_e32 v91, 0xbf167918, v10
	v_fmac_f32_e32 v1, 0x3e9e377a, v0
	s_delay_alu instid0(VALU_DEP_2) | instskip(NEXT) | instid1(VALU_DEP_2)
	v_fmac_f32_e32 v91, 0x3e9e377a, v0
	v_mul_f32_e32 v31, 0xbf737871, v1
	v_mul_f32_e32 v32, 0x3e9e377a, v1
	s_delay_alu instid0(VALU_DEP_3) | instskip(SKIP_1) | instid1(VALU_DEP_4)
	v_mul_f32_e32 v33, 0xbf737871, v91
	v_mul_f32_e32 v34, 0xbe9e377a, v91
	v_fmac_f32_e32 v31, 0x3e9e377a, v3
	s_delay_alu instid0(VALU_DEP_4) | instskip(NEXT) | instid1(VALU_DEP_4)
	v_fmac_f32_e32 v32, 0x3f737871, v3
	v_fmac_f32_e32 v33, 0xbe9e377a, v90
	s_delay_alu instid0(VALU_DEP_4) | instskip(NEXT) | instid1(VALU_DEP_3)
	v_fmac_f32_e32 v34, 0x3f737871, v90
	v_dual_add_f32 v0, v30, v31 :: v_dual_add_f32 v1, v28, v32
	s_delay_alu instid0(VALU_DEP_2)
	v_dual_add_f32 v2, v29, v33 :: v_dual_add_f32 v3, v83, v34
	ds_store_2addr_b64 v35, v[0:1], v[2:3] offset0:60 offset1:90
	v_dual_sub_f32 v0, v20, v26 :: v_dual_sub_f32 v1, v25, v27
	v_dual_add_f32 v2, v16, v4 :: v_dual_add_f32 v3, v21, v5
	ds_store_2addr_b64 v35, v[2:3], v[0:1] offset0:120 offset1:150
	v_dual_sub_f32 v0, v18, v14 :: v_dual_sub_f32 v1, v23, v15
	v_dual_sub_f32 v2, v30, v31 :: v_dual_sub_f32 v3, v28, v32
	ds_store_2addr_b64 v35, v[0:1], v[2:3] offset0:180 offset1:210
	v_sub_f32_e32 v2, v16, v4
	scratch_load_b32 v4, off, off offset:280 ; 4-byte Folded Reload
	v_dual_sub_f32 v1, v83, v34 :: v_dual_sub_f32 v0, v29, v33
	v_sub_f32_e32 v3, v21, v5
	s_waitcnt vmcnt(0)
	ds_store_2addr_b64 v4, v[0:1], v[2:3] offset0:112 offset1:142
	s_waitcnt lgkmcnt(0)
	s_barrier
	buffer_gl0_inv
	s_clause 0x1
	scratch_load_b128 v[6:9], off, off offset:332
	scratch_load_b128 v[16:19], off, off offset:316
	ds_load_2addr_b64 v[0:3], v255 offset0:132 offset1:222
	scratch_load_b128 v[24:27], off, off offset:380 ; 16-byte Folded Reload
	s_waitcnt vmcnt(2) lgkmcnt(0)
	v_mul_f32_e32 v15, v7, v1
	s_waitcnt vmcnt(1)
	v_mul_f32_e32 v39, v17, v3
	s_delay_alu instid0(VALU_DEP_2) | instskip(NEXT) | instid1(VALU_DEP_2)
	v_fmac_f32_e32 v15, v6, v0
	v_dual_mul_f32 v0, v7, v0 :: v_dual_fmac_f32 v39, v16, v2
	s_delay_alu instid0(VALU_DEP_1)
	v_fma_f32 v11, v6, v1, -v0
	ds_load_2addr_b64 v[4:7], v236 offset0:8 offset1:98
	s_waitcnt lgkmcnt(0)
	v_mul_f32_e32 v0, v9, v4
	v_mul_f32_e32 v23, v9, v5
	;; [unrolled: 1-line block ×3, first 2 shown]
	s_delay_alu instid0(VALU_DEP_3) | instskip(NEXT) | instid1(VALU_DEP_3)
	v_fma_f32 v12, v8, v5, -v0
	v_dual_mul_f32 v0, v17, v2 :: v_dual_fmac_f32 v23, v8, v4
	s_delay_alu instid0(VALU_DEP_2) | instskip(NEXT) | instid1(VALU_DEP_2)
	v_dual_fmac_f32 v41, v18, v6 :: v_dual_add_f32 v14, v11, v12
	v_fma_f32 v40, v16, v3, -v0
	v_mul_f32_e32 v0, v19, v6
	s_delay_alu instid0(VALU_DEP_1)
	v_fma_f32 v42, v18, v7, -v0
	s_clause 0x1
	scratch_load_b128 v[6:9], off, off offset:348
	scratch_load_b128 v[16:19], off, off offset:364
	ds_load_2addr_b64 v[0:3], v243 offset0:56 offset1:146
	s_waitcnt lgkmcnt(0)
	v_mul_f32_e32 v83, v200, v3
	s_delay_alu instid0(VALU_DEP_1) | instskip(SKIP_2) | instid1(VALU_DEP_1)
	v_fmac_f32_e32 v83, v199, v2
	s_waitcnt vmcnt(1)
	v_mul_f32_e32 v43, v7, v1
	v_fmac_f32_e32 v43, v6, v0
	v_mul_f32_e32 v0, v7, v0
	s_delay_alu instid0(VALU_DEP_1)
	v_fma_f32 v80, v6, v1, -v0
	ds_load_2addr_b64 v[4:7], v38 offset0:60 offset1:150
	s_waitcnt lgkmcnt(0)
	v_mul_f32_e32 v0, v9, v4
	v_mul_f32_e32 v81, v9, v5
	;; [unrolled: 1-line block ×3, first 2 shown]
	s_delay_alu instid0(VALU_DEP_3) | instskip(SKIP_1) | instid1(VALU_DEP_4)
	v_fma_f32 v82, v8, v5, -v0
	v_mul_f32_e32 v0, v200, v2
	v_fmac_f32_e32 v81, v8, v4
	s_delay_alu instid0(VALU_DEP_4) | instskip(NEXT) | instid1(VALU_DEP_3)
	v_fmac_f32_e32 v45, v201, v6
	v_fma_f32 v44, v199, v3, -v0
	v_mul_f32_e32 v0, v202, v6
	s_delay_alu instid0(VALU_DEP_1)
	v_fma_f32 v46, v201, v7, -v0
	ds_load_2addr_b64 v[0:3], v185 offset0:108 offset1:198
	ds_load_2addr_b64 v[4:7], v179 offset0:112 offset1:202
	s_waitcnt vmcnt(0) lgkmcnt(1)
	v_mul_f32_e32 v8, v17, v1
	s_waitcnt lgkmcnt(0)
	v_mul_f32_e32 v10, v19, v5
	v_mul_f32_e32 v84, v204, v3
	;; [unrolled: 1-line block ×3, first 2 shown]
	v_fmac_f32_e32 v8, v16, v0
	v_mul_f32_e32 v0, v17, v0
	s_delay_alu instid0(VALU_DEP_4) | instskip(SKIP_2) | instid1(VALU_DEP_4)
	v_fmac_f32_e32 v84, v203, v2
	v_fmac_f32_e32 v10, v18, v4
	;; [unrolled: 1-line block ×3, first 2 shown]
	v_fma_f32 v9, v16, v1, -v0
	v_mul_f32_e32 v0, v19, v4
	scratch_load_b128 v[19:22], off, off offset:428 ; 16-byte Folded Reload
	v_fma_f32 v47, v18, v5, -v0
	v_mul_f32_e32 v0, v204, v2
	s_delay_alu instid0(VALU_DEP_1) | instskip(SKIP_1) | instid1(VALU_DEP_1)
	v_fma_f32 v85, v203, v3, -v0
	v_mul_f32_e32 v0, v206, v6
	v_fma_f32 v87, v205, v7, -v0
	ds_load_2addr_b64 v[0:3], v209 offset0:160 offset1:250
	ds_load_2addr_b64 v[4:7], v208 offset0:36 offset1:126
	s_waitcnt lgkmcnt(1)
	v_mul_f32_e32 v88, v240, v1
	s_waitcnt lgkmcnt(0)
	v_mul_f32_e32 v90, v242, v5
	s_delay_alu instid0(VALU_DEP_2) | instskip(SKIP_1) | instid1(VALU_DEP_3)
	v_fmac_f32_e32 v88, v239, v0
	v_mul_f32_e32 v0, v240, v0
	v_fmac_f32_e32 v90, v241, v4
	s_delay_alu instid0(VALU_DEP_2) | instskip(SKIP_1) | instid1(VALU_DEP_1)
	v_fma_f32 v89, v239, v1, -v0
	v_dual_mul_f32 v0, v242, v4 :: v_dual_mul_f32 v1, v252, v2
	v_fma_f32 v91, v241, v5, -v0
	v_mul_f32_e32 v0, v252, v3
	s_delay_alu instid0(VALU_DEP_3) | instskip(SKIP_2) | instid1(VALU_DEP_4)
	v_fma_f32 v92, v251, v3, -v1
	v_mul_f32_e32 v3, v254, v7
	v_mul_f32_e32 v1, v254, v6
	v_fmac_f32_e32 v0, v251, v2
	s_delay_alu instid0(VALU_DEP_3) | instskip(NEXT) | instid1(VALU_DEP_3)
	v_fmac_f32_e32 v3, v253, v6
	v_fma_f32 v16, v253, v7, -v1
	ds_load_2addr_b64 v[4:7], v189 offset0:84 offset1:174
	s_waitcnt vmcnt(0) lgkmcnt(0)
	v_mul_f32_e32 v1, v20, v5
	v_mul_f32_e32 v2, v20, v4
	s_delay_alu instid0(VALU_DEP_2) | instskip(NEXT) | instid1(VALU_DEP_2)
	v_fmac_f32_e32 v1, v19, v4
	v_fma_f32 v5, v19, v5, -v2
	ds_load_2addr_b64 v[17:20], v191 offset0:88 offset1:178
	s_waitcnt lgkmcnt(0)
	v_mul_f32_e32 v4, v22, v18
	v_dual_mul_f32 v2, v22, v17 :: v_dual_mul_f32 v13, v27, v19
	s_delay_alu instid0(VALU_DEP_2) | instskip(NEXT) | instid1(VALU_DEP_2)
	v_fmac_f32_e32 v4, v21, v17
	v_fma_f32 v17, v21, v18, -v2
	v_mul_f32_e32 v2, v25, v7
	s_delay_alu instid0(VALU_DEP_4) | instskip(NEXT) | instid1(VALU_DEP_2)
	v_fma_f32 v18, v26, v20, -v13
	v_fmac_f32_e32 v2, v24, v6
	v_mul_f32_e32 v6, v25, v6
	s_delay_alu instid0(VALU_DEP_1) | instskip(SKIP_2) | instid1(VALU_DEP_2)
	v_fma_f32 v7, v24, v7, -v6
	v_mul_f32_e32 v6, v27, v20
	v_sub_f32_e32 v24, v11, v12
	v_fmac_f32_e32 v6, v26, v19
	ds_load_2addr_b64 v[19:22], v36 offset1:90
	s_waitcnt lgkmcnt(0)
	v_add_f32_e32 v13, v20, v11
	v_add_f32_e32 v11, v19, v15
	v_fma_f32 v14, -0.5, v14, v20
	s_delay_alu instid0(VALU_DEP_3) | instskip(SKIP_1) | instid1(VALU_DEP_4)
	v_dual_add_f32 v12, v13, v12 :: v_dual_add_f32 v13, v15, v23
	v_sub_f32_e32 v15, v15, v23
	v_add_f32_e32 v11, v11, v23
	s_delay_alu instid0(VALU_DEP_3) | instskip(NEXT) | instid1(VALU_DEP_3)
	v_fma_f32 v13, -0.5, v13, v19
	v_fmamk_f32 v20, v15, 0x3f5db3d7, v14
	v_dual_fmac_f32 v14, 0xbf5db3d7, v15 :: v_dual_sub_f32 v15, v39, v41
	s_delay_alu instid0(VALU_DEP_3)
	v_fmamk_f32 v19, v24, 0xbf5db3d7, v13
	v_fmac_f32_e32 v13, 0x3f5db3d7, v24
	ds_load_2addr_b64 v[23:26], v244 offset0:52 offset1:142
	ds_load_2addr_b64 v[27:30], v233 offset0:104 offset1:194
	;; [unrolled: 1-line block ×4, first 2 shown]
	s_waitcnt lgkmcnt(0)
	s_barrier
	buffer_gl0_inv
	ds_store_b64 v99, v[19:20] offset:2400
	ds_store_b64 v99, v[13:14] offset:4800
	v_dual_add_f32 v13, v21, v39 :: v_dual_add_f32 v14, v22, v40
	s_delay_alu instid0(VALU_DEP_1) | instskip(NEXT) | instid1(VALU_DEP_2)
	v_dual_sub_f32 v20, v80, v82 :: v_dual_add_f32 v13, v13, v41
	v_add_f32_e32 v14, v14, v42
	ds_store_2addr_b64 v99, v[11:12], v[13:14] offset1:90
	v_dual_add_f32 v11, v23, v43 :: v_dual_add_f32 v12, v24, v80
	v_add_f32_e32 v13, v43, v81
	s_delay_alu instid0(VALU_DEP_2) | instskip(NEXT) | instid1(VALU_DEP_2)
	v_dual_add_f32 v11, v11, v81 :: v_dual_add_f32 v12, v12, v82
	v_fma_f32 v13, -0.5, v13, v23
	v_sub_f32_e32 v23, v43, v81
	v_add_nc_u32_e32 v81, 0x1c00, v99
	ds_store_b64 v99, v[11:12] offset:1440
	v_dual_add_f32 v11, v39, v41 :: v_dual_sub_f32 v12, v40, v42
	v_fmamk_f32 v19, v20, 0xbf5db3d7, v13
	v_fmac_f32_e32 v13, 0x3f5db3d7, v20
	s_delay_alu instid0(VALU_DEP_3) | instskip(SKIP_1) | instid1(VALU_DEP_1)
	v_fma_f32 v21, -0.5, v11, v21
	v_add_f32_e32 v11, v40, v42
	v_dual_fmac_f32 v22, -0.5, v11 :: v_dual_fmamk_f32 v11, v12, 0xbf5db3d7, v21
	v_dual_fmac_f32 v21, 0x3f5db3d7, v12 :: v_dual_add_f32 v12, v80, v82
	s_delay_alu instid0(VALU_DEP_1) | instskip(NEXT) | instid1(VALU_DEP_3)
	v_fma_f32 v14, -0.5, v12, v24
	v_fmamk_f32 v12, v15, 0x3f5db3d7, v22
	v_dual_fmac_f32 v22, 0xbf5db3d7, v15 :: v_dual_sub_f32 v15, v44, v46
	s_delay_alu instid0(VALU_DEP_3)
	v_fmamk_f32 v20, v23, 0x3f5db3d7, v14
	v_fmac_f32_e32 v14, 0xbf5db3d7, v23
	ds_store_2addr_b64 v93, v[21:22], v[13:14] offset0:50 offset1:140
	ds_store_2addr_b64 v233, v[11:12], v[19:20] offset0:134 offset1:224
	scratch_load_b32 v20, off, off offset:264 ; 4-byte Folded Reload
	v_add_f32_e32 v11, v83, v45
	v_dual_add_f32 v13, v25, v83 :: v_dual_add_f32 v12, v26, v44
	v_sub_f32_e32 v19, v83, v45
	v_add_f32_e32 v21, v29, v84
	s_delay_alu instid0(VALU_DEP_4) | instskip(SKIP_3) | instid1(VALU_DEP_3)
	v_fma_f32 v25, -0.5, v11, v25
	v_add_f32_e32 v11, v44, v46
	v_add_f32_e32 v12, v12, v46
	v_add_f32_e32 v22, v30, v85
	v_dual_fmac_f32 v26, -0.5, v11 :: v_dual_add_f32 v11, v13, v45
	v_fmamk_f32 v13, v15, 0xbf5db3d7, v25
	v_fmac_f32_e32 v25, 0x3f5db3d7, v15
	s_delay_alu instid0(VALU_DEP_3)
	v_dual_sub_f32 v15, v8, v10 :: v_dual_fmamk_f32 v14, v19, 0x3f5db3d7, v26
	v_fmac_f32_e32 v26, 0xbf5db3d7, v19
	s_waitcnt vmcnt(0)
	ds_store_b64 v20, v[11:12]
	v_dual_add_f32 v11, v8, v10 :: v_dual_add_f32 v12, v9, v47
	ds_store_b64 v20, v[25:26] offset:4800
	ds_store_b64 v20, v[13:14] offset:2400
	v_sub_f32_e32 v14, v9, v47
	v_add_f32_e32 v8, v27, v8
	v_fma_f32 v11, -0.5, v11, v27
	v_fma_f32 v12, -0.5, v12, v28
	v_add_f32_e32 v9, v28, v9
	s_delay_alu instid0(VALU_DEP_3) | instskip(NEXT) | instid1(VALU_DEP_3)
	v_dual_add_f32 v8, v8, v10 :: v_dual_fmamk_f32 v13, v14, 0xbf5db3d7, v11
	v_dual_fmac_f32 v11, 0x3f5db3d7, v14 :: v_dual_fmamk_f32 v14, v15, 0x3f5db3d7, v12
	v_dual_fmac_f32 v12, 0xbf5db3d7, v15 :: v_dual_add_f32 v15, v84, v86
	s_delay_alu instid0(VALU_DEP_4) | instskip(SKIP_1) | instid1(VALU_DEP_3)
	v_add_f32_e32 v9, v9, v47
	v_add_f32_e32 v10, v21, v86
	v_fma_f32 v29, -0.5, v15, v29
	v_add_f32_e32 v15, v85, v87
	s_delay_alu instid0(VALU_DEP_1) | instskip(SKIP_1) | instid1(VALU_DEP_1)
	v_fmac_f32_e32 v30, -0.5, v15
	v_sub_f32_e32 v15, v85, v87
	v_fmamk_f32 v19, v15, 0xbf5db3d7, v29
	v_fmac_f32_e32 v29, 0x3f5db3d7, v15
	v_sub_f32_e32 v15, v84, v86
	s_delay_alu instid0(VALU_DEP_1)
	v_fmamk_f32 v20, v15, 0x3f5db3d7, v30
	v_dual_fmac_f32 v30, 0xbf5db3d7, v15 :: v_dual_sub_f32 v15, v88, v90
	ds_store_2addr_b64 v189, v[11:12], v[29:30] offset0:24 offset1:114
	v_add_f32_e32 v11, v22, v87
	ds_store_2addr_b64 v81, v[8:9], v[10:11] offset0:64 offset1:154
	ds_store_2addr_b64 v185, v[13:14], v[19:20] offset0:108 offset1:198
	scratch_load_b32 v19, off, off offset:276 ; 4-byte Folded Reload
	v_dual_add_f32 v11, v89, v91 :: v_dual_add_f32 v10, v88, v90
	v_dual_add_f32 v8, v31, v88 :: v_dual_add_f32 v9, v32, v89
	v_sub_f32_e32 v14, v89, v91
	s_delay_alu instid0(VALU_DEP_3) | instskip(NEXT) | instid1(VALU_DEP_4)
	v_fma_f32 v11, -0.5, v11, v32
	v_fma_f32 v10, -0.5, v10, v31
	s_delay_alu instid0(VALU_DEP_4) | instskip(NEXT) | instid1(VALU_DEP_3)
	v_dual_add_f32 v8, v8, v90 :: v_dual_add_f32 v9, v9, v91
	v_fmamk_f32 v13, v15, 0x3f5db3d7, v11
	s_delay_alu instid0(VALU_DEP_3)
	v_fmamk_f32 v12, v14, 0xbf5db3d7, v10
	v_fmac_f32_e32 v10, 0x3f5db3d7, v14
	v_fmac_f32_e32 v11, 0xbf5db3d7, v15
	s_waitcnt vmcnt(0)
	ds_store_b64 v19, v[8:9]
	ds_store_b64 v19, v[12:13] offset:2400
	ds_store_b64 v19, v[10:11] offset:4800
	scratch_load_b32 v13, off, off offset:288 ; 4-byte Folded Reload
	v_add_f32_e32 v8, v0, v3
	v_add_f32_e32 v10, v33, v0
	;; [unrolled: 1-line block ×3, first 2 shown]
	v_sub_f32_e32 v12, v92, v16
	v_sub_f32_e32 v0, v0, v3
	v_fma_f32 v33, -0.5, v8, v33
	v_add_f32_e32 v8, v92, v16
	v_add_f32_e32 v9, v9, v16
	s_delay_alu instid0(VALU_DEP_2)
	v_fmac_f32_e32 v34, -0.5, v8
	v_add_f32_e32 v8, v10, v3
	v_fmamk_f32 v10, v12, 0xbf5db3d7, v33
	v_fmac_f32_e32 v33, 0x3f5db3d7, v12
	v_add_f32_e32 v3, v36, v5
	v_fmamk_f32 v11, v0, 0x3f5db3d7, v34
	v_fmac_f32_e32 v34, 0xbf5db3d7, v0
	v_add_f32_e32 v0, v35, v1
	s_waitcnt vmcnt(0)
	ds_store_b64 v13, v[8:9] offset:14400
	ds_store_b64 v13, v[33:34] offset:19200
	;; [unrolled: 1-line block ×3, first 2 shown]
	scratch_load_b32 v10, off, off offset:308 ; 4-byte Folded Reload
	v_dual_add_f32 v8, v0, v4 :: v_dual_add_f32 v9, v3, v17
	v_add_f32_e32 v0, v5, v17
	v_sub_f32_e32 v3, v5, v17
	v_add_f32_e32 v5, v1, v4
	v_sub_f32_e32 v4, v1, v4
	s_waitcnt vmcnt(0)
	ds_store_b64 v10, v[8:9] offset:14400
	v_fma_f32 v8, -0.5, v5, v35
	v_add_f32_e32 v5, v2, v6
	v_fma_f32 v9, -0.5, v0, v36
	s_delay_alu instid0(VALU_DEP_3) | instskip(SKIP_1) | instid1(VALU_DEP_4)
	v_fmamk_f32 v0, v3, 0xbf5db3d7, v8
	v_dual_fmac_f32 v8, 0x3f5db3d7, v3 :: v_dual_add_f32 v3, v37, v2
	v_fma_f32 v37, -0.5, v5, v37
	v_add_f32_e32 v5, v7, v18
	v_fmamk_f32 v1, v4, 0x3f5db3d7, v9
	v_dual_fmac_f32 v9, 0xbf5db3d7, v4 :: v_dual_add_f32 v4, v38, v7
	v_sub_f32_e32 v2, v2, v6
	s_delay_alu instid0(VALU_DEP_4) | instskip(SKIP_1) | instid1(VALU_DEP_4)
	v_dual_fmac_f32 v38, -0.5, v5 :: v_dual_add_f32 v3, v3, v6
	v_sub_f32_e32 v7, v7, v18
	v_add_f32_e32 v4, v4, v18
	ds_store_b64 v10, v[8:9] offset:19200
	v_fmamk_f32 v6, v2, 0x3f5db3d7, v38
	v_fmac_f32_e32 v38, 0xbf5db3d7, v2
	scratch_load_b32 v2, off, off offset:284 ; 4-byte Folded Reload
	v_fmamk_f32 v5, v7, 0xbf5db3d7, v37
	v_fmac_f32_e32 v37, 0x3f5db3d7, v7
	s_waitcnt vmcnt(0)
	ds_store_b64 v2, v[37:38] offset:19200
	ds_store_b64 v10, v[0:1] offset:16800
	;; [unrolled: 1-line block ×4, first 2 shown]
	s_waitcnt lgkmcnt(0)
	s_barrier
	buffer_gl0_inv
	scratch_load_b128 v[8:11], off, off offset:292 ; 16-byte Folded Reload
	ds_load_2addr_b64 v[0:3], v255 offset0:132 offset1:222
	ds_load_2addr_b64 v[4:7], v236 offset0:8 offset1:98
	;; [unrolled: 1-line block ×4, first 2 shown]
	s_waitcnt lgkmcnt(3)
	v_mul_f32_e32 v26, v182, v1
	s_waitcnt lgkmcnt(2)
	v_mul_f32_e32 v28, v184, v5
	s_delay_alu instid0(VALU_DEP_2) | instskip(SKIP_1) | instid1(VALU_DEP_3)
	v_fmac_f32_e32 v26, v181, v0
	v_mul_f32_e32 v0, v182, v0
	v_fmac_f32_e32 v28, v183, v4
	s_delay_alu instid0(VALU_DEP_2) | instskip(SKIP_1) | instid1(VALU_DEP_1)
	v_fma_f32 v27, v181, v1, -v0
	v_mul_f32_e32 v0, v184, v4
	v_fma_f32 v29, v183, v5, -v0
	s_waitcnt vmcnt(0)
	v_mul_f32_e32 v0, v9, v2
	v_mul_f32_e32 v40, v9, v3
	;; [unrolled: 1-line block ×3, first 2 shown]
	s_delay_alu instid0(VALU_DEP_3) | instskip(SKIP_1) | instid1(VALU_DEP_4)
	v_fma_f32 v41, v8, v3, -v0
	v_mul_f32_e32 v0, v11, v6
	v_fmac_f32_e32 v40, v8, v2
	s_delay_alu instid0(VALU_DEP_4) | instskip(NEXT) | instid1(VALU_DEP_3)
	v_fmac_f32_e32 v42, v10, v6
	v_fma_f32 v43, v10, v7, -v0
	ds_load_2addr_b64 v[0:3], v243 offset0:56 offset1:146
	ds_load_2addr_b64 v[7:10], v95 offset0:60 offset1:150
	s_waitcnt lgkmcnt(1)
	v_mul_f32_e32 v4, v73, v1
	v_mul_f32_e32 v12, v53, v3
	s_delay_alu instid0(VALU_DEP_2) | instskip(SKIP_1) | instid1(VALU_DEP_3)
	v_fmac_f32_e32 v4, v72, v0
	v_mul_f32_e32 v0, v73, v0
	v_fmac_f32_e32 v12, v52, v2
	v_mul_f32_e32 v2, v53, v2
	s_delay_alu instid0(VALU_DEP_3) | instskip(SKIP_2) | instid1(VALU_DEP_3)
	v_fma_f32 v6, v72, v1, -v0
	s_waitcnt lgkmcnt(0)
	v_mul_f32_e32 v1, v75, v7
	v_fma_f32 v15, v52, v3, -v2
	v_mul_f32_e32 v2, v55, v10
	v_mul_f32_e32 v3, v55, v9
	;; [unrolled: 1-line block ×3, first 2 shown]
	v_fma_f32 v1, v74, v8, -v1
	v_mul_f32_e32 v52, v59, v25
	v_fmac_f32_e32 v2, v54, v9
	v_fma_f32 v3, v54, v10, -v3
	ds_load_2addr_b64 v[8:11], v185 offset0:108 offset1:198
	v_fmac_f32_e32 v0, v74, v7
	s_waitcnt lgkmcnt(0)
	v_dual_fmac_f32 v52, v58, v24 :: v_dual_mul_f32 v7, v77, v9
	v_mul_f32_e32 v5, v77, v8
	s_delay_alu instid0(VALU_DEP_2) | instskip(SKIP_1) | instid1(VALU_DEP_3)
	v_fmac_f32_e32 v7, v76, v8
	v_mul_f32_e32 v8, v79, v16
	v_fma_f32 v9, v76, v9, -v5
	v_mul_f32_e32 v5, v79, v17
	s_delay_alu instid0(VALU_DEP_3) | instskip(SKIP_1) | instid1(VALU_DEP_3)
	v_fma_f32 v8, v78, v17, -v8
	v_mul_f32_e32 v17, v61, v11
	v_dual_fmac_f32 v5, v78, v16 :: v_dual_mul_f32 v16, v71, v22
	s_delay_alu instid0(VALU_DEP_2) | instskip(SKIP_1) | instid1(VALU_DEP_3)
	v_fmac_f32_e32 v17, v60, v10
	v_mul_f32_e32 v10, v61, v10
	v_fma_f32 v16, v70, v23, -v16
	s_delay_alu instid0(VALU_DEP_2) | instskip(SKIP_2) | instid1(VALU_DEP_2)
	v_fma_f32 v44, v60, v11, -v10
	v_mul_f32_e32 v10, v63, v19
	v_mul_f32_e32 v11, v63, v18
	v_fmac_f32_e32 v10, v62, v18
	s_delay_alu instid0(VALU_DEP_2)
	v_fma_f32 v11, v62, v19, -v11
	ds_load_2addr_b64 v[18:21], v209 offset0:160 offset1:250
	s_waitcnt lgkmcnt(0)
	v_mul_f32_e32 v14, v69, v19
	v_mul_f32_e32 v13, v69, v18
	;; [unrolled: 1-line block ×3, first 2 shown]
	s_delay_alu instid0(VALU_DEP_3) | instskip(SKIP_1) | instid1(VALU_DEP_4)
	v_fmac_f32_e32 v14, v68, v18
	v_mul_f32_e32 v18, v57, v20
	v_fma_f32 v45, v68, v19, -v13
	s_delay_alu instid0(VALU_DEP_4) | instskip(NEXT) | instid1(VALU_DEP_3)
	v_dual_fmac_f32 v46, v56, v20 :: v_dual_mul_f32 v13, v71, v23
	v_fma_f32 v47, v56, v21, -v18
	s_delay_alu instid0(VALU_DEP_2) | instskip(NEXT) | instid1(VALU_DEP_1)
	v_dual_mul_f32 v18, v59, v24 :: v_dual_fmac_f32 v13, v70, v22
	v_fma_f32 v53, v58, v25, -v18
	ds_load_2addr_b64 v[18:21], v189 offset0:84 offset1:174
	ds_load_2addr_b64 v[22:25], v191 offset0:88 offset1:178
	s_waitcnt lgkmcnt(1)
	v_mul_f32_e32 v54, v65, v19
	v_mul_f32_e32 v58, v49, v21
	s_waitcnt lgkmcnt(0)
	v_mul_f32_e32 v56, v67, v23
	s_delay_alu instid0(VALU_DEP_3) | instskip(SKIP_2) | instid1(VALU_DEP_4)
	v_fmac_f32_e32 v54, v64, v18
	v_mul_f32_e32 v18, v65, v18
	v_fmac_f32_e32 v58, v48, v20
	v_fmac_f32_e32 v56, v66, v22
	s_delay_alu instid0(VALU_DEP_3) | instskip(NEXT) | instid1(VALU_DEP_2)
	v_fma_f32 v55, v64, v19, -v18
	v_dual_mul_f32 v18, v67, v22 :: v_dual_sub_f32 v59, v54, v56
	s_delay_alu instid0(VALU_DEP_1) | instskip(SKIP_3) | instid1(VALU_DEP_3)
	v_fma_f32 v57, v66, v23, -v18
	v_dual_mul_f32 v18, v49, v20 :: v_dual_mul_f32 v49, v51, v25
	v_add_f32_e32 v23, v27, v29
	v_mov_b32_e32 v66, v99
	v_fma_f32 v48, v48, v21, -v18
	v_mul_f32_e32 v18, v51, v24
	v_dual_fmac_f32 v49, v50, v24 :: v_dual_sub_f32 v24, v27, v29
	v_sub_f32_e32 v51, v55, v57
	s_delay_alu instid0(VALU_DEP_3) | instskip(SKIP_4) | instid1(VALU_DEP_2)
	v_fma_f32 v50, v50, v25, -v18
	ds_load_2addr_b64 v[18:21], v99 offset1:90
	s_waitcnt lgkmcnt(0)
	v_dual_sub_f32 v25, v26, v28 :: v_dual_add_f32 v22, v19, v27
	v_fma_f32 v19, -0.5, v23, v19
	v_add_f32_e32 v39, v22, v29
	s_delay_alu instid0(VALU_DEP_2) | instskip(NEXT) | instid1(VALU_DEP_1)
	v_dual_add_f32 v22, v18, v26 :: v_dual_fmamk_f32 v23, v25, 0x3f5db3d7, v19
	v_dual_fmac_f32 v19, 0xbf5db3d7, v25 :: v_dual_add_f32 v38, v22, v28
	v_add_f32_e32 v22, v26, v28
	s_delay_alu instid0(VALU_DEP_1) | instskip(NEXT) | instid1(VALU_DEP_1)
	v_fma_f32 v18, -0.5, v22, v18
	v_fmamk_f32 v22, v24, 0xbf5db3d7, v18
	v_fmac_f32_e32 v18, 0x3f5db3d7, v24
	ds_store_b64 v99, v[22:23] offset:7200
	ds_store_b64 v99, v[18:19] offset:14400
	v_dual_add_f32 v18, v20, v40 :: v_dual_add_f32 v19, v21, v41
	ds_load_2addr_b64 v[22:25], v244 offset0:52 offset1:142
	ds_load_2addr_b64 v[26:29], v233 offset0:104 offset1:194
	;; [unrolled: 1-line block ×4, first 2 shown]
	v_dual_add_f32 v18, v18, v42 :: v_dual_add_f32 v19, v19, v43
	ds_store_2addr_b64 v99, v[38:39], v[18:19] offset1:90
	v_dual_add_f32 v18, v40, v42 :: v_dual_sub_f32 v19, v41, v43
	v_dual_sub_f32 v38, v40, v42 :: v_dual_add_f32 v39, v6, v1
	v_sub_f32_e32 v42, v4, v0
	s_delay_alu instid0(VALU_DEP_3)
	v_fma_f32 v20, -0.5, v18, v20
	v_dual_add_f32 v18, v41, v43 :: v_dual_sub_f32 v41, v6, v1
	s_waitcnt lgkmcnt(4)
	v_fma_f32 v39, -0.5, v39, v23
	s_waitcnt lgkmcnt(2)
	v_dual_add_f32 v43, v33, v47 :: v_dual_add_f32 v60, v24, v12
	v_dual_fmac_f32 v21, -0.5, v18 :: v_dual_fmamk_f32 v18, v19, 0xbf5db3d7, v20
	v_fmac_f32_e32 v20, 0x3f5db3d7, v19
	v_add_f32_e32 v61, v25, v15
	s_delay_alu instid0(VALU_DEP_3) | instskip(SKIP_3) | instid1(VALU_DEP_3)
	v_dual_add_f32 v62, v29, v44 :: v_dual_fmamk_f32 v19, v38, 0x3f5db3d7, v21
	v_dual_fmac_f32 v21, 0xbf5db3d7, v38 :: v_dual_add_f32 v38, v4, v0
	v_add_f32_e32 v4, v22, v4
	v_add_f32_e32 v6, v23, v6
	v_fma_f32 v38, -0.5, v38, v22
	s_delay_alu instid0(VALU_DEP_2) | instskip(NEXT) | instid1(VALU_DEP_2)
	v_dual_add_f32 v0, v4, v0 :: v_dual_add_f32 v1, v6, v1
	v_fmamk_f32 v40, v41, 0xbf5db3d7, v38
	v_dual_fmac_f32 v38, 0x3f5db3d7, v41 :: v_dual_fmamk_f32 v41, v42, 0x3f5db3d7, v39
	v_fmac_f32_e32 v39, 0xbf5db3d7, v42
	ds_store_2addr_b64 v236, v[20:21], v[38:39] offset0:98 offset1:188
	ds_store_2addr_b64 v81, v[18:19], v[40:41] offset0:94 offset1:184
	v_add_f32_e32 v18, v46, v52
	v_dual_add_f32 v42, v32, v46 :: v_dual_add_f32 v19, v55, v57
	v_sub_f32_e32 v46, v46, v52
	v_add_nc_u32_e32 v40, 0x2c00, v66
	s_delay_alu instid0(VALU_DEP_4) | instskip(SKIP_4) | instid1(VALU_DEP_3)
	v_fma_f32 v32, -0.5, v18, v32
	v_add_f32_e32 v18, v47, v53
	s_waitcnt lgkmcnt(3)
	v_fma_f32 v19, -0.5, v19, v35
	v_sub_f32_e32 v47, v47, v53
	v_dual_fmac_f32 v33, -0.5, v18 :: v_dual_add_f32 v18, v54, v56
	s_delay_alu instid0(VALU_DEP_2) | instskip(NEXT) | instid1(VALU_DEP_4)
	v_fmamk_f32 v20, v47, 0xbf5db3d7, v32
	v_dual_fmamk_f32 v39, v59, 0x3f5db3d7, v19 :: v_dual_fmac_f32 v32, 0x3f5db3d7, v47
	s_delay_alu instid0(VALU_DEP_3) | instskip(NEXT) | instid1(VALU_DEP_4)
	v_fmamk_f32 v21, v46, 0x3f5db3d7, v33
	v_fma_f32 v18, -0.5, v18, v34
	v_fmac_f32_e32 v33, 0xbf5db3d7, v46
	s_delay_alu instid0(VALU_DEP_2)
	v_dual_fmac_f32 v19, 0xbf5db3d7, v59 :: v_dual_fmamk_f32 v38, v51, 0xbf5db3d7, v18
	v_fmac_f32_e32 v18, 0x3f5db3d7, v51
	ds_store_2addr_b64 v40, v[20:21], v[38:39] offset0:122 offset1:212
	v_add_f32_e32 v20, v12, v2
	v_sub_f32_e32 v12, v12, v2
	v_add_f32_e32 v2, v60, v2
	ds_store_2addr_b64 v208, v[32:33], v[18:19] offset0:126 offset1:216
	v_fma_f32 v24, -0.5, v20, v24
	v_add_f32_e32 v20, v15, v3
	v_sub_f32_e32 v15, v15, v3
	v_add_f32_e32 v3, v61, v3
	s_delay_alu instid0(VALU_DEP_2) | instskip(SKIP_1) | instid1(VALU_DEP_2)
	v_dual_fmac_f32 v25, -0.5, v20 :: v_dual_fmamk_f32 v20, v15, 0xbf5db3d7, v24
	v_dual_fmac_f32 v24, 0x3f5db3d7, v15 :: v_dual_add_f32 v15, v9, v8
	v_fmamk_f32 v21, v12, 0x3f5db3d7, v25
	v_dual_fmac_f32 v25, 0xbf5db3d7, v12 :: v_dual_add_f32 v12, v7, v5
	s_delay_alu instid0(VALU_DEP_3) | instskip(SKIP_1) | instid1(VALU_DEP_3)
	v_fma_f32 v39, -0.5, v15, v27
	v_add_f32_e32 v15, v28, v17
	v_fma_f32 v38, -0.5, v12, v26
	v_dual_sub_f32 v12, v9, v8 :: v_dual_add_f32 v9, v27, v9
	s_delay_alu instid0(VALU_DEP_1) | instskip(SKIP_2) | instid1(VALU_DEP_1)
	v_fmamk_f32 v40, v12, 0xbf5db3d7, v38
	v_fmac_f32_e32 v38, 0x3f5db3d7, v12
	v_dual_sub_f32 v12, v7, v5 :: v_dual_add_f32 v7, v26, v7
	v_fmamk_f32 v41, v12, 0x3f5db3d7, v39
	v_dual_fmac_f32 v39, 0xbf5db3d7, v12 :: v_dual_add_f32 v12, v17, v10
	ds_store_2addr_b64 v179, v[24:25], v[38:39] offset0:22 offset1:112
	v_fma_f32 v28, -0.5, v12, v28
	v_add_f32_e32 v12, v44, v11
	s_delay_alu instid0(VALU_DEP_1) | instskip(NEXT) | instid1(VALU_DEP_1)
	v_dual_fmac_f32 v29, -0.5, v12 :: v_dual_sub_f32 v12, v44, v11
	v_fmamk_f32 v22, v12, 0xbf5db3d7, v28
	v_fmac_f32_e32 v28, 0x3f5db3d7, v12
	v_sub_f32_e32 v12, v17, v10
	v_add_f32_e32 v17, v45, v16
	s_delay_alu instid0(VALU_DEP_2) | instskip(SKIP_1) | instid1(VALU_DEP_3)
	v_fmamk_f32 v23, v12, 0x3f5db3d7, v29
	v_dual_fmac_f32 v29, 0xbf5db3d7, v12 :: v_dual_add_f32 v12, v14, v13
	v_fma_f32 v25, -0.5, v17, v31
	s_delay_alu instid0(VALU_DEP_2) | instskip(SKIP_1) | instid1(VALU_DEP_1)
	v_fma_f32 v24, -0.5, v12, v30
	v_sub_f32_e32 v12, v45, v16
	v_fmamk_f32 v38, v12, 0xbf5db3d7, v24
	v_fmac_f32_e32 v24, 0x3f5db3d7, v12
	v_sub_f32_e32 v12, v14, v13
	s_delay_alu instid0(VALU_DEP_1)
	v_fmamk_f32 v39, v12, 0x3f5db3d7, v25
	v_fmac_f32_e32 v25, 0xbf5db3d7, v12
	v_add_nc_u32_e32 v12, 0x4400, v66
	ds_store_2addr_b64 v12, v[28:29], v[24:25] offset0:74 offset1:164
	v_add_f32_e32 v12, v30, v14
	v_add_f32_e32 v14, v31, v45
	ds_store_2addr_b64 v244, v[0:1], v[2:3] offset0:52 offset1:142
	ds_store_2addr_b64 v243, v[20:21], v[40:41] offset0:146 offset1:236
	v_dual_add_f32 v0, v7, v5 :: v_dual_add_f32 v1, v9, v8
	v_dual_add_f32 v2, v15, v10 :: v_dual_add_f32 v3, v62, v11
	ds_store_2addr_b64 v233, v[0:1], v[2:3] offset0:104 offset1:194
	ds_store_2addr_b64 v209, v[22:23], v[38:39] offset0:70 offset1:160
	v_dual_add_f32 v0, v12, v13 :: v_dual_add_f32 v1, v14, v16
	v_dual_add_f32 v2, v42, v52 :: v_dual_add_f32 v3, v43, v53
	ds_store_2addr_b64 v187, v[0:1], v[2:3] offset0:28 offset1:118
	v_dual_add_f32 v0, v34, v54 :: v_dual_add_f32 v1, v35, v55
	v_dual_add_f32 v2, v36, v58 :: v_dual_add_f32 v3, v37, v48
	s_delay_alu instid0(VALU_DEP_2) | instskip(NEXT) | instid1(VALU_DEP_2)
	v_dual_add_f32 v0, v0, v56 :: v_dual_add_f32 v1, v1, v57
	v_dual_add_f32 v2, v2, v49 :: v_dual_add_f32 v3, v3, v50
	ds_store_2addr_b64 v93, v[0:1], v[2:3] offset0:80 offset1:170
	v_dual_add_f32 v0, v58, v49 :: v_dual_sub_f32 v1, v48, v50
	v_sub_f32_e32 v2, v58, v49
	s_delay_alu instid0(VALU_DEP_2) | instskip(SKIP_1) | instid1(VALU_DEP_1)
	v_fma_f32 v36, -0.5, v0, v36
	v_add_f32_e32 v0, v48, v50
	v_dual_fmac_f32 v37, -0.5, v0 :: v_dual_fmamk_f32 v0, v1, 0xbf5db3d7, v36
	s_delay_alu instid0(VALU_DEP_1)
	v_dual_fmac_f32 v36, 0x3f5db3d7, v1 :: v_dual_fmamk_f32 v1, v2, 0x3f5db3d7, v37
	v_fmac_f32_e32 v37, 0xbf5db3d7, v2
	ds_store_b64 v99, v[36:37] offset:20880
	ds_store_b64 v99, v[0:1] offset:13680
	s_waitcnt lgkmcnt(0)
	s_barrier
	buffer_gl0_inv
	s_clause 0x2
	scratch_load_b64 v[5:6], off, off offset:184
	scratch_load_b64 v[14:15], off, off offset:200
	;; [unrolled: 1-line block ×3, first 2 shown]
	ds_load_2addr_b64 v[1:4], v99 offset1:90
	s_clause 0x1
	scratch_load_b64 v[22:23], off, off offset:152
	scratch_load_b64 v[9:10], off, off offset:232
	ds_load_2addr_b64 v[25:28], v95 offset0:60 offset1:150
	s_clause 0x3
	scratch_load_b64 v[30:31], off, off offset:168
	scratch_load_b64 v[35:36], off, off offset:96
	;; [unrolled: 1-line block ×3, first 2 shown]
	scratch_load_b32 v66, off, off offset:248
	s_waitcnt vmcnt(8) lgkmcnt(1)
	v_mul_f32_e32 v0, v6, v2
	s_delay_alu instid0(VALU_DEP_1) | instskip(SKIP_1) | instid1(VALU_DEP_1)
	v_fmac_f32_e32 v0, v5, v1
	v_mul_f32_e32 v1, v6, v1
	v_fma_f32 v1, v5, v2, -v1
	scratch_load_b64 v[5:6], off, off offset:240 ; 8-byte Folded Reload
	s_waitcnt vmcnt(0)
	v_mul_f32_e32 v2, v6, v4
	s_delay_alu instid0(VALU_DEP_1) | instskip(SKIP_1) | instid1(VALU_DEP_1)
	v_fmac_f32_e32 v2, v5, v3
	v_mul_f32_e32 v3, v6, v3
	v_fma_f32 v3, v5, v4, -v3
	ds_load_2addr_b64 v[5:8], v255 offset0:132 offset1:222
	s_waitcnt lgkmcnt(0)
	v_mul_f32_e32 v4, v10, v6
	s_delay_alu instid0(VALU_DEP_1) | instskip(SKIP_1) | instid1(VALU_DEP_1)
	v_fmac_f32_e32 v4, v9, v5
	v_mul_f32_e32 v5, v10, v5
	v_fma_f32 v5, v9, v6, -v5
	scratch_load_b64 v[9:10], off, off offset:208 ; 8-byte Folded Reload
	s_waitcnt vmcnt(0)
	v_mul_f32_e32 v6, v10, v8
	s_delay_alu instid0(VALU_DEP_1) | instskip(SKIP_1) | instid1(VALU_DEP_1)
	v_fmac_f32_e32 v6, v9, v7
	v_mul_f32_e32 v7, v10, v7
	v_fma_f32 v8, v9, v8, -v7
	ds_load_2addr_b64 v[9:12], v236 offset0:8 offset1:98
	s_waitcnt lgkmcnt(0)
	v_mul_f32_e32 v13, v15, v10
	v_mul_f32_e32 v7, v15, v9
	scratch_load_b64 v[15:16], off, off offset:216 ; 8-byte Folded Reload
	v_fmac_f32_e32 v13, v14, v9
	v_fma_f32 v14, v14, v10, -v7
	s_waitcnt vmcnt(0)
	v_mul_f32_e32 v9, v16, v12
	v_mul_f32_e32 v7, v16, v11
	s_delay_alu instid0(VALU_DEP_2) | instskip(NEXT) | instid1(VALU_DEP_2)
	v_fmac_f32_e32 v9, v15, v11
	v_fma_f32 v10, v15, v12, -v7
	ds_load_2addr_b64 v[15:18], v244 offset0:52 offset1:142
	s_waitcnt lgkmcnt(0)
	v_mul_f32_e32 v7, v20, v16
	v_mul_f32_e32 v11, v20, v15
	s_delay_alu instid0(VALU_DEP_2) | instskip(NEXT) | instid1(VALU_DEP_2)
	v_fmac_f32_e32 v7, v19, v15
	v_fma_f32 v11, v19, v16, -v11
	scratch_load_b64 v[19:20], off, off offset:192 ; 8-byte Folded Reload
	s_waitcnt vmcnt(0)
	v_mul_f32_e32 v12, v20, v18
	v_mul_f32_e32 v15, v20, v17
	s_delay_alu instid0(VALU_DEP_2) | instskip(NEXT) | instid1(VALU_DEP_2)
	v_fmac_f32_e32 v12, v19, v17
	v_fma_f32 v16, v19, v18, -v15
	ds_load_2addr_b64 v[18:21], v243 offset0:56 offset1:146
	s_waitcnt lgkmcnt(0)
	v_mul_f32_e32 v17, v23, v19
	v_mul_f32_e32 v15, v23, v18
	s_delay_alu instid0(VALU_DEP_2) | instskip(NEXT) | instid1(VALU_DEP_2)
	v_fmac_f32_e32 v17, v22, v18
	v_fma_f32 v19, v22, v19, -v15
	scratch_load_b64 v[22:23], off, off offset:176 ; 8-byte Folded Reload
	s_waitcnt vmcnt(0)
	v_mul_f32_e32 v15, v23, v21
	v_mul_f32_e32 v18, v23, v20
	s_delay_alu instid0(VALU_DEP_2) | instskip(NEXT) | instid1(VALU_DEP_2)
	v_fmac_f32_e32 v15, v22, v20
	v_fma_f32 v21, v22, v21, -v18
	scratch_load_b64 v[22:23], off, off offset:144 ; 8-byte Folded Reload
	s_waitcnt vmcnt(0)
	;; [unrolled: 7-line block ×3, first 2 shown]
	v_mul_f32_e32 v20, v23, v28
	v_mul_f32_e32 v18, v23, v27
	s_delay_alu instid0(VALU_DEP_2) | instskip(NEXT) | instid1(VALU_DEP_2)
	v_fmac_f32_e32 v20, v22, v27
	v_fma_f32 v23, v22, v28, -v18
	ds_load_2addr_b64 v[26:29], v233 offset0:104 offset1:194
	s_waitcnt lgkmcnt(0)
	v_mul_f32_e32 v18, v31, v27
	v_mul_f32_e32 v22, v31, v26
	s_delay_alu instid0(VALU_DEP_2) | instskip(NEXT) | instid1(VALU_DEP_2)
	v_fmac_f32_e32 v18, v30, v26
	v_fma_f32 v22, v30, v27, -v22
	scratch_load_b64 v[30:31], off, off offset:120 ; 8-byte Folded Reload
	s_waitcnt vmcnt(0)
	v_mul_f32_e32 v26, v31, v29
	v_mul_f32_e32 v27, v31, v28
	s_delay_alu instid0(VALU_DEP_2) | instskip(NEXT) | instid1(VALU_DEP_2)
	v_fmac_f32_e32 v26, v30, v28
	v_fma_f32 v28, v30, v29, -v27
	ds_load_2addr_b64 v[29:32], v185 offset0:108 offset1:198
	s_waitcnt lgkmcnt(0)
	v_mul_f32_e32 v34, v36, v30
	v_mul_f32_e32 v27, v36, v29
	scratch_load_b64 v[36:37], off, off offset:112 ; 8-byte Folded Reload
	v_fmac_f32_e32 v34, v35, v29
	v_fma_f32 v35, v35, v30, -v27
	s_waitcnt vmcnt(0)
	v_mul_f32_e32 v27, v37, v32
	v_mul_f32_e32 v29, v37, v31
	scratch_load_b64 v[37:38], off, off offset:104 ; 8-byte Folded Reload
	v_fmac_f32_e32 v27, v36, v31
	v_fma_f32 v29, v36, v32, -v29
	ds_load_2addr_b64 v[30:33], v179 offset0:112 offset1:202
	s_waitcnt vmcnt(0) lgkmcnt(0)
	v_mul_f32_e32 v36, v38, v31
	s_delay_alu instid0(VALU_DEP_1)
	v_fmac_f32_e32 v36, v37, v30
	v_mul_f32_e32 v30, v38, v30
	scratch_load_b64 v[38:39], off, off offset:128 ; 8-byte Folded Reload
	v_fma_f32 v37, v37, v31, -v30
	s_waitcnt vmcnt(0)
	v_mul_f32_e32 v30, v39, v33
	v_mul_f32_e32 v31, v39, v32
	s_delay_alu instid0(VALU_DEP_2) | instskip(NEXT) | instid1(VALU_DEP_2)
	v_fmac_f32_e32 v30, v38, v32
	v_fma_f32 v33, v38, v33, -v31
	ds_load_2addr_b64 v[38:41], v187 offset0:28 offset1:118
	s_waitcnt lgkmcnt(0)
	v_mul_f32_e32 v31, v43, v39
	v_mul_f32_e32 v32, v43, v38
	s_delay_alu instid0(VALU_DEP_2) | instskip(NEXT) | instid1(VALU_DEP_2)
	v_fmac_f32_e32 v31, v42, v38
	v_fma_f32 v32, v42, v39, -v32
	scratch_load_b64 v[42:43], off, off offset:88 ; 8-byte Folded Reload
	s_waitcnt vmcnt(0)
	v_mul_f32_e32 v44, v43, v41
	v_mul_f32_e32 v38, v43, v40
	s_delay_alu instid0(VALU_DEP_2) | instskip(NEXT) | instid1(VALU_DEP_2)
	v_fmac_f32_e32 v44, v42, v40
	v_fma_f32 v45, v42, v41, -v38
	scratch_load_b64 v[42:43], off, off offset:56 ; 8-byte Folded Reload
	ds_load_2addr_b64 v[38:41], v209 offset0:160 offset1:250
	s_waitcnt vmcnt(0) lgkmcnt(0)
	v_mul_f32_e32 v46, v43, v39
	s_delay_alu instid0(VALU_DEP_1) | instskip(SKIP_1) | instid1(VALU_DEP_1)
	v_fmac_f32_e32 v46, v42, v38
	v_mul_f32_e32 v38, v43, v38
	v_fma_f32 v47, v42, v39, -v38
	scratch_load_b64 v[38:39], off, off offset:80 ; 8-byte Folded Reload
	s_waitcnt vmcnt(0)
	v_mul_f32_e32 v48, v39, v41
	v_dual_mov_b32 v43, v39 :: v_dual_mov_b32 v42, v38
	s_delay_alu instid0(VALU_DEP_2) | instskip(NEXT) | instid1(VALU_DEP_2)
	v_fmac_f32_e32 v48, v38, v40
	v_mul_f32_e32 v38, v43, v40
	s_delay_alu instid0(VALU_DEP_1) | instskip(SKIP_4) | instid1(VALU_DEP_1)
	v_fma_f32 v49, v42, v41, -v38
	scratch_load_b64 v[42:43], off, off offset:40 ; 8-byte Folded Reload
	ds_load_2addr_b64 v[38:41], v208 offset0:36 offset1:126
	s_waitcnt vmcnt(0) lgkmcnt(0)
	v_mul_f32_e32 v50, v43, v39
	v_fmac_f32_e32 v50, v42, v38
	v_mul_f32_e32 v38, v43, v38
	s_delay_alu instid0(VALU_DEP_1) | instskip(SKIP_4) | instid1(VALU_DEP_2)
	v_fma_f32 v51, v42, v39, -v38
	scratch_load_b64 v[42:43], off, off offset:64 ; 8-byte Folded Reload
	s_waitcnt vmcnt(0)
	v_mul_f32_e32 v52, v43, v41
	v_mul_f32_e32 v38, v43, v40
	v_fmac_f32_e32 v52, v42, v40
	s_delay_alu instid0(VALU_DEP_2) | instskip(SKIP_4) | instid1(VALU_DEP_1)
	v_fma_f32 v53, v42, v41, -v38
	scratch_load_b64 v[42:43], off, off offset:72 ; 8-byte Folded Reload
	ds_load_2addr_b64 v[38:41], v93 offset0:80 offset1:170
	s_waitcnt vmcnt(0) lgkmcnt(0)
	v_mul_f32_e32 v54, v43, v39
	v_fmac_f32_e32 v54, v42, v38
	v_mul_f32_e32 v38, v43, v38
	s_delay_alu instid0(VALU_DEP_1) | instskip(SKIP_4) | instid1(VALU_DEP_2)
	v_fma_f32 v55, v42, v39, -v38
	scratch_load_b64 v[42:43], off, off offset:48 ; 8-byte Folded Reload
	s_waitcnt vmcnt(0)
	v_mul_f32_e32 v56, v43, v41
	v_mul_f32_e32 v38, v43, v40
	v_fmac_f32_e32 v56, v42, v40
	s_delay_alu instid0(VALU_DEP_2) | instskip(SKIP_4) | instid1(VALU_DEP_1)
	;; [unrolled: 15-line block ×3, first 2 shown]
	v_fma_f32 v61, v42, v41, -v38
	scratch_load_b64 v[42:43], off, off offset:16 ; 8-byte Folded Reload
	ds_load_2addr_b64 v[38:41], v191 offset0:88 offset1:178
	s_waitcnt vmcnt(0) lgkmcnt(0)
	v_mul_f32_e32 v62, v43, v39
	v_fmac_f32_e32 v62, v42, v38
	v_mul_f32_e32 v38, v43, v38
	s_delay_alu instid0(VALU_DEP_1) | instskip(SKIP_4) | instid1(VALU_DEP_2)
	v_fma_f32 v63, v42, v39, -v38
	scratch_load_b64 v[42:43], off, off offset:24 ; 8-byte Folded Reload
	s_waitcnt vmcnt(0)
	v_mul_f32_e32 v64, v43, v41
	v_mul_f32_e32 v38, v43, v40
	v_fmac_f32_e32 v64, v42, v40
	s_delay_alu instid0(VALU_DEP_2) | instskip(SKIP_4) | instid1(SALU_CYCLE_1)
	v_fma_f32 v65, v42, v41, -v38
	scratch_load_b64 v[42:43], off, off     ; 8-byte Folded Reload
	s_waitcnt vmcnt(0)
	v_mad_u64_u32 v[38:39], null, s6, v42, 0
	s_mul_hi_u32 s6, s4, 0xffffca90
	s_sub_i32 s6, s6, s4
	s_delay_alu instid0(VALU_DEP_1) | instskip(NEXT) | instid1(VALU_DEP_1)
	v_mad_u64_u32 v[40:41], null, s7, v42, v[39:40]
	v_mov_b32_e32 v39, v40
	v_mad_u64_u32 v[40:41], null, s4, v66, 0
	s_mulk_i32 s4, 0xca90
	s_delay_alu instid0(VALU_DEP_2) | instskip(NEXT) | instid1(VALU_DEP_2)
	v_lshlrev_b64 v[38:39], 3, v[38:39]
	v_mad_u64_u32 v[42:43], null, s5, v66, v[41:42]
	s_mulk_i32 s5, 0xca90
	s_delay_alu instid0(SALU_CYCLE_1) | instskip(NEXT) | instid1(VALU_DEP_1)
	s_add_i32 s5, s6, s5
	v_mov_b32_e32 v41, v42
	s_delay_alu instid0(VALU_DEP_3) | instskip(SKIP_1) | instid1(VALU_DEP_3)
	v_add_co_u32 v42, vcc_lo, s0, v38
	v_add_co_ci_u32_e32 v43, vcc_lo, s1, v39, vcc_lo
	v_lshlrev_b64 v[38:39], 3, v[40:41]
	v_cvt_f64_f32_e32 v[40:41], v0
	v_cvt_f64_f32_e32 v[0:1], v1
	s_mov_b32 s0, 0xa0ce5129
	s_mov_b32 s1, 0x3f3845c8
	s_delay_alu instid0(VALU_DEP_3) | instskip(SKIP_4) | instid1(VALU_DEP_3)
	v_add_co_u32 v38, vcc_lo, v42, v38
	v_add_co_ci_u32_e32 v39, vcc_lo, v43, v39, vcc_lo
	v_cvt_f64_f32_e32 v[42:43], v65
	v_mul_f64 v[40:41], v[40:41], s[0:1]
	v_mul_f64 v[0:1], v[0:1], s[0:1]
	;; [unrolled: 1-line block ×3, first 2 shown]
	s_delay_alu instid0(VALU_DEP_3) | instskip(NEXT) | instid1(VALU_DEP_3)
	v_cvt_f32_f64_e32 v40, v[40:41]
	v_cvt_f32_f64_e32 v41, v[0:1]
	v_cvt_f64_f32_e32 v[0:1], v4
	v_cvt_f64_f32_e32 v[4:5], v5
	global_store_b64 v[38:39], v[40:41], off
	v_mul_f64 v[0:1], v[0:1], s[0:1]
	v_mul_f64 v[4:5], v[4:5], s[0:1]
	v_cvt_f64_f32_e32 v[40:41], v64
	s_delay_alu instid0(VALU_DEP_3) | instskip(NEXT) | instid1(VALU_DEP_3)
	v_cvt_f32_f64_e32 v0, v[0:1]
	v_cvt_f32_f64_e32 v1, v[4:5]
	v_cvt_f64_f32_e32 v[4:5], v13
	v_cvt_f64_f32_e32 v[13:14], v14
	v_mul_f64 v[40:41], v[40:41], s[0:1]
	s_delay_alu instid0(VALU_DEP_3) | instskip(NEXT) | instid1(VALU_DEP_3)
	v_mul_f64 v[4:5], v[4:5], s[0:1]
	v_mul_f64 v[13:14], v[13:14], s[0:1]
	s_delay_alu instid0(VALU_DEP_2) | instskip(NEXT) | instid1(VALU_DEP_2)
	v_cvt_f32_f64_e32 v4, v[4:5]
	v_cvt_f32_f64_e32 v5, v[13:14]
	v_cvt_f64_f32_e32 v[13:14], v2
	v_cvt_f64_f32_e32 v[2:3], v3
	s_delay_alu instid0(VALU_DEP_2) | instskip(NEXT) | instid1(VALU_DEP_2)
	v_mul_f64 v[13:14], v[13:14], s[0:1]
	v_mul_f64 v[2:3], v[2:3], s[0:1]
	s_delay_alu instid0(VALU_DEP_2) | instskip(NEXT) | instid1(VALU_DEP_2)
	v_cvt_f32_f64_e32 v13, v[13:14]
	v_cvt_f32_f64_e32 v14, v[2:3]
	v_add_co_u32 v2, vcc_lo, v38, s3
	v_add_co_ci_u32_e32 v3, vcc_lo, s2, v39, vcc_lo
	v_cvt_f64_f32_e32 v[38:39], v61
	global_store_b64 v[2:3], v[0:1], off
	v_add_co_u32 v0, vcc_lo, v2, s3
	v_add_co_ci_u32_e32 v1, vcc_lo, s2, v3, vcc_lo
	v_cvt_f64_f32_e32 v[2:3], v6
	global_store_b64 v[0:1], v[4:5], off
	v_cvt_f64_f32_e32 v[4:5], v8
	v_add_co_u32 v0, vcc_lo, v0, s4
	v_add_co_ci_u32_e32 v1, vcc_lo, s5, v1, vcc_lo
	global_store_b64 v[0:1], v[13:14], off
	v_add_co_u32 v0, vcc_lo, v0, s3
	v_add_co_ci_u32_e32 v1, vcc_lo, s2, v1, vcc_lo
	v_mul_f64 v[38:39], v[38:39], s[0:1]
	v_mul_f64 v[2:3], v[2:3], s[0:1]
	;; [unrolled: 1-line block ×3, first 2 shown]
	s_delay_alu instid0(VALU_DEP_2) | instskip(NEXT) | instid1(VALU_DEP_2)
	v_cvt_f32_f64_e32 v2, v[2:3]
	v_cvt_f32_f64_e32 v3, v[4:5]
	v_cvt_f64_f32_e32 v[4:5], v9
	v_cvt_f64_f32_e32 v[8:9], v10
	global_store_b64 v[0:1], v[2:3], off
	v_mul_f64 v[4:5], v[4:5], s[0:1]
	v_mul_f64 v[8:9], v[8:9], s[0:1]
	v_cvt_f64_f32_e32 v[2:3], v7
	v_cvt_f64_f32_e32 v[6:7], v11
	v_add_co_u32 v0, vcc_lo, v0, s3
	v_add_co_ci_u32_e32 v1, vcc_lo, s2, v1, vcc_lo
	v_cvt_f64_f32_e32 v[10:11], v35
	v_cvt_f32_f64_e32 v4, v[4:5]
	v_cvt_f32_f64_e32 v5, v[8:9]
	v_mul_f64 v[2:3], v[2:3], s[0:1]
	v_mul_f64 v[6:7], v[6:7], s[0:1]
	v_cvt_f64_f32_e32 v[8:9], v22
	v_mul_f64 v[10:11], v[10:11], s[0:1]
	global_store_b64 v[0:1], v[4:5], off
	v_cvt_f32_f64_e32 v2, v[2:3]
	v_cvt_f32_f64_e32 v3, v[6:7]
	v_cvt_f64_f32_e32 v[4:5], v17
	v_cvt_f64_f32_e32 v[6:7], v19
	v_add_co_u32 v0, vcc_lo, v0, s4
	v_add_co_ci_u32_e32 v1, vcc_lo, s5, v1, vcc_lo
	v_mul_f64 v[8:9], v[8:9], s[0:1]
	global_store_b64 v[0:1], v[2:3], off
	v_mul_f64 v[4:5], v[4:5], s[0:1]
	v_mul_f64 v[6:7], v[6:7], s[0:1]
	v_cvt_f64_f32_e32 v[2:3], v24
	v_add_co_u32 v0, vcc_lo, v0, s3
	v_add_co_ci_u32_e32 v1, vcc_lo, s2, v1, vcc_lo
	v_cvt_f32_f64_e32 v4, v[4:5]
	v_cvt_f32_f64_e32 v5, v[6:7]
	v_cvt_f64_f32_e32 v[6:7], v25
	v_mul_f64 v[2:3], v[2:3], s[0:1]
	v_cvt_f64_f32_e32 v[24:25], v53
	global_store_b64 v[0:1], v[4:5], off
	v_mul_f64 v[6:7], v[6:7], s[0:1]
	v_cvt_f32_f64_e32 v2, v[2:3]
	v_cvt_f64_f32_e32 v[4:5], v12
	v_add_co_u32 v0, vcc_lo, v0, s3
	v_add_co_ci_u32_e32 v1, vcc_lo, s2, v1, vcc_lo
	v_cvt_f64_f32_e32 v[12:13], v26
	v_mul_f64 v[24:25], v[24:25], s[0:1]
	v_cvt_f32_f64_e32 v3, v[6:7]
	v_cvt_f64_f32_e32 v[6:7], v16
	v_mul_f64 v[4:5], v[4:5], s[0:1]
	v_cvt_f64_f32_e32 v[16:17], v29
	v_mul_f64 v[12:13], v[12:13], s[0:1]
	global_store_b64 v[0:1], v[2:3], off
	v_mul_f64 v[6:7], v[6:7], s[0:1]
	v_cvt_f32_f64_e32 v4, v[4:5]
	v_cvt_f64_f32_e32 v[2:3], v15
	v_add_co_u32 v0, vcc_lo, v0, s4
	v_add_co_ci_u32_e32 v1, vcc_lo, s5, v1, vcc_lo
	v_cvt_f64_f32_e32 v[14:15], v28
	v_mul_f64 v[16:17], v[16:17], s[0:1]
	v_cvt_f32_f64_e32 v12, v[12:13]
	v_cvt_f64_f32_e32 v[28:29], v55
	v_cvt_f32_f64_e32 v5, v[6:7]
	v_cvt_f64_f32_e32 v[6:7], v21
	v_mul_f64 v[2:3], v[2:3], s[0:1]
	v_mul_f64 v[14:15], v[14:15], s[0:1]
	v_mul_f64 v[28:29], v[28:29], s[0:1]
	global_store_b64 v[0:1], v[4:5], off
	v_mul_f64 v[6:7], v[6:7], s[0:1]
	v_cvt_f32_f64_e32 v2, v[2:3]
	v_cvt_f64_f32_e32 v[4:5], v20
	v_add_co_u32 v0, vcc_lo, v0, s3
	v_add_co_ci_u32_e32 v1, vcc_lo, s2, v1, vcc_lo
	v_cvt_f32_f64_e32 v13, v[14:15]
	v_cvt_f64_f32_e32 v[14:15], v31
	v_cvt_f64_f32_e32 v[20:21], v32
	v_cvt_f32_f64_e32 v3, v[6:7]
	v_cvt_f64_f32_e32 v[6:7], v23
	v_mul_f64 v[4:5], v[4:5], s[0:1]
	v_cvt_f64_f32_e32 v[22:23], v47
	v_mul_f64 v[14:15], v[14:15], s[0:1]
	v_mul_f64 v[20:21], v[20:21], s[0:1]
	global_store_b64 v[0:1], v[2:3], off
	v_mul_f64 v[6:7], v[6:7], s[0:1]
	v_cvt_f32_f64_e32 v4, v[4:5]
	v_cvt_f64_f32_e32 v[2:3], v34
	v_add_co_u32 v0, vcc_lo, v0, s3
	v_add_co_ci_u32_e32 v1, vcc_lo, s2, v1, vcc_lo
	v_cvt_f32_f64_e32 v14, v[14:15]
	v_cvt_f32_f64_e32 v15, v[20:21]
	v_mul_f64 v[22:23], v[22:23], s[0:1]
	v_cvt_f64_f32_e32 v[34:35], v59
	v_cvt_f32_f64_e32 v5, v[6:7]
	v_cvt_f64_f32_e32 v[6:7], v18
	v_mul_f64 v[2:3], v[2:3], s[0:1]
	v_cvt_f64_f32_e32 v[18:19], v33
	v_cvt_f64_f32_e32 v[32:33], v58
	v_mul_f64 v[34:35], v[34:35], s[0:1]
	global_store_b64 v[0:1], v[4:5], off
	v_mul_f64 v[6:7], v[6:7], s[0:1]
	v_cvt_f64_f32_e32 v[4:5], v36
	v_cvt_f32_f64_e32 v2, v[2:3]
	v_cvt_f32_f64_e32 v3, v[10:11]
	v_cvt_f64_f32_e32 v[10:11], v27
	v_mul_f64 v[18:19], v[18:19], s[0:1]
	v_add_co_u32 v0, vcc_lo, v0, s4
	v_add_co_ci_u32_e32 v1, vcc_lo, s5, v1, vcc_lo
	v_cvt_f64_f32_e32 v[26:27], v54
	v_mul_f64 v[32:33], v[32:33], s[0:1]
	v_cvt_f32_f64_e32 v6, v[6:7]
	v_cvt_f32_f64_e32 v7, v[8:9]
	v_cvt_f64_f32_e32 v[8:9], v37
	v_mul_f64 v[4:5], v[4:5], s[0:1]
	v_mul_f64 v[10:11], v[10:11], s[0:1]
	v_cvt_f64_f32_e32 v[36:37], v60
	v_mul_f64 v[26:27], v[26:27], s[0:1]
	global_store_b64 v[0:1], v[6:7], off
	v_mul_f64 v[8:9], v[8:9], s[0:1]
	v_cvt_f32_f64_e32 v4, v[4:5]
	v_cvt_f32_f64_e32 v10, v[10:11]
	;; [unrolled: 1-line block ×3, first 2 shown]
	v_cvt_f64_f32_e32 v[16:17], v46
	v_cvt_f64_f32_e32 v[6:7], v44
	v_mul_f64 v[36:37], v[36:37], s[0:1]
	v_cvt_f32_f64_e32 v5, v[8:9]
	v_cvt_f64_f32_e32 v[8:9], v30
	v_mul_f64 v[16:17], v[16:17], s[0:1]
	v_mul_f64 v[6:7], v[6:7], s[0:1]
	s_delay_alu instid0(VALU_DEP_3) | instskip(NEXT) | instid1(VALU_DEP_1)
	v_mul_f64 v[8:9], v[8:9], s[0:1]
	v_cvt_f32_f64_e32 v8, v[8:9]
	v_cvt_f32_f64_e32 v9, v[18:19]
	v_add_co_u32 v18, vcc_lo, v0, s3
	v_add_co_ci_u32_e32 v19, vcc_lo, s2, v1, vcc_lo
	s_delay_alu instid0(VALU_DEP_2) | instskip(NEXT) | instid1(VALU_DEP_2)
	v_add_co_u32 v20, vcc_lo, v18, s3
	v_add_co_ci_u32_e32 v21, vcc_lo, s2, v19, vcc_lo
	global_store_b64 v[18:19], v[2:3], off
	global_store_b64 v[20:21], v[4:5], off
	v_add_co_u32 v0, vcc_lo, v20, s4
	v_add_co_ci_u32_e32 v1, vcc_lo, s5, v21, vcc_lo
	v_cvt_f64_f32_e32 v[2:3], v50
	v_cvt_f64_f32_e32 v[4:5], v51
	;; [unrolled: 1-line block ×3, first 2 shown]
	global_store_b64 v[0:1], v[12:13], off
	v_add_co_u32 v0, vcc_lo, v0, s3
	v_add_co_ci_u32_e32 v1, vcc_lo, s2, v1, vcc_lo
	v_cvt_f64_f32_e32 v[20:21], v52
	s_delay_alu instid0(VALU_DEP_3) | instskip(NEXT) | instid1(VALU_DEP_3)
	v_add_co_u32 v12, vcc_lo, v0, s3
	v_add_co_ci_u32_e32 v13, vcc_lo, s2, v1, vcc_lo
	global_store_b64 v[0:1], v[10:11], off
	v_cvt_f64_f32_e32 v[0:1], v45
	v_cvt_f64_f32_e32 v[10:11], v48
	v_add_co_u32 v30, vcc_lo, v12, s4
	v_add_co_ci_u32_e32 v31, vcc_lo, s5, v13, vcc_lo
	global_store_b64 v[12:13], v[8:9], off
	global_store_b64 v[30:31], v[14:15], off
	v_cvt_f32_f64_e32 v8, v[16:17]
	v_cvt_f64_f32_e32 v[12:13], v62
	v_cvt_f64_f32_e32 v[14:15], v63
	v_add_co_u32 v16, vcc_lo, v30, s3
	v_cvt_f32_f64_e32 v9, v[22:23]
	v_add_co_ci_u32_e32 v17, vcc_lo, s2, v31, vcc_lo
	v_cvt_f64_f32_e32 v[22:23], v56
	v_cvt_f64_f32_e32 v[30:31], v57
	v_mul_f64 v[2:3], v[2:3], s[0:1]
	v_mul_f64 v[4:5], v[4:5], s[0:1]
	;; [unrolled: 1-line block ×8, first 2 shown]
	global_store_b64 v[16:17], v[8:9], off
	v_mul_f64 v[22:23], v[22:23], s[0:1]
	v_mul_f64 v[30:31], v[30:31], s[0:1]
	v_cvt_f32_f64_e32 v2, v[2:3]
	v_cvt_f32_f64_e32 v3, v[4:5]
	;; [unrolled: 1-line block ×10, first 2 shown]
	v_add_co_u32 v18, vcc_lo, v16, s3
	v_add_co_ci_u32_e32 v19, vcc_lo, s2, v17, vcc_lo
	v_cvt_f32_f64_e32 v10, v[26:27]
	s_delay_alu instid0(VALU_DEP_3) | instskip(SKIP_1) | instid1(VALU_DEP_4)
	v_add_co_u32 v24, vcc_lo, v18, s4
	v_cvt_f32_f64_e32 v11, v[28:29]
	v_add_co_ci_u32_e32 v25, vcc_lo, s5, v19, vcc_lo
	v_cvt_f32_f64_e32 v12, v[12:13]
	v_cvt_f32_f64_e32 v13, v[14:15]
	v_add_co_u32 v14, vcc_lo, v24, s3
	s_delay_alu instid0(VALU_DEP_4)
	v_add_co_ci_u32_e32 v15, vcc_lo, s2, v25, vcc_lo
	v_cvt_f32_f64_e32 v22, v[22:23]
	v_cvt_f32_f64_e32 v23, v[30:31]
	;; [unrolled: 1-line block ×6, first 2 shown]
	v_add_co_u32 v30, vcc_lo, v14, s3
	v_add_co_ci_u32_e32 v31, vcc_lo, s2, v15, vcc_lo
	global_store_b64 v[18:19], v[2:3], off
	v_add_co_u32 v8, vcc_lo, v30, s4
	v_add_co_ci_u32_e32 v9, vcc_lo, s5, v31, vcc_lo
	s_delay_alu instid0(VALU_DEP_2) | instskip(NEXT) | instid1(VALU_DEP_2)
	v_add_co_u32 v2, vcc_lo, v8, s3
	v_add_co_ci_u32_e32 v3, vcc_lo, s2, v9, vcc_lo
	global_store_b64 v[24:25], v[4:5], off
	v_add_co_u32 v4, vcc_lo, v2, s3
	v_add_co_ci_u32_e32 v5, vcc_lo, s2, v3, vcc_lo
	global_store_b64 v[14:15], v[0:1], off
	;; [unrolled: 3-line block ×5, first 2 shown]
	global_store_b64 v[4:5], v[12:13], off
	global_store_b64 v[0:1], v[22:23], off
	;; [unrolled: 1-line block ×4, first 2 shown]
.LBB0_2:
	s_nop 0
	s_sendmsg sendmsg(MSG_DEALLOC_VGPRS)
	s_endpgm
	.section	.rodata,"a",@progbits
	.p2align	6, 0x0
	.amdhsa_kernel bluestein_single_back_len2700_dim1_sp_op_CI_CI
		.amdhsa_group_segment_fixed_size 21600
		.amdhsa_private_segment_fixed_size 492
		.amdhsa_kernarg_size 104
		.amdhsa_user_sgpr_count 15
		.amdhsa_user_sgpr_dispatch_ptr 0
		.amdhsa_user_sgpr_queue_ptr 0
		.amdhsa_user_sgpr_kernarg_segment_ptr 1
		.amdhsa_user_sgpr_dispatch_id 0
		.amdhsa_user_sgpr_private_segment_size 0
		.amdhsa_wavefront_size32 1
		.amdhsa_uses_dynamic_stack 0
		.amdhsa_enable_private_segment 1
		.amdhsa_system_sgpr_workgroup_id_x 1
		.amdhsa_system_sgpr_workgroup_id_y 0
		.amdhsa_system_sgpr_workgroup_id_z 0
		.amdhsa_system_sgpr_workgroup_info 0
		.amdhsa_system_vgpr_workitem_id 0
		.amdhsa_next_free_vgpr 256
		.amdhsa_next_free_sgpr 20
		.amdhsa_reserve_vcc 1
		.amdhsa_float_round_mode_32 0
		.amdhsa_float_round_mode_16_64 0
		.amdhsa_float_denorm_mode_32 3
		.amdhsa_float_denorm_mode_16_64 3
		.amdhsa_dx10_clamp 1
		.amdhsa_ieee_mode 1
		.amdhsa_fp16_overflow 0
		.amdhsa_workgroup_processor_mode 1
		.amdhsa_memory_ordered 1
		.amdhsa_forward_progress 0
		.amdhsa_shared_vgpr_count 0
		.amdhsa_exception_fp_ieee_invalid_op 0
		.amdhsa_exception_fp_denorm_src 0
		.amdhsa_exception_fp_ieee_div_zero 0
		.amdhsa_exception_fp_ieee_overflow 0
		.amdhsa_exception_fp_ieee_underflow 0
		.amdhsa_exception_fp_ieee_inexact 0
		.amdhsa_exception_int_div_zero 0
	.end_amdhsa_kernel
	.text
.Lfunc_end0:
	.size	bluestein_single_back_len2700_dim1_sp_op_CI_CI, .Lfunc_end0-bluestein_single_back_len2700_dim1_sp_op_CI_CI
                                        ; -- End function
	.section	.AMDGPU.csdata,"",@progbits
; Kernel info:
; codeLenInByte = 35180
; NumSgprs: 22
; NumVgprs: 256
; ScratchSize: 492
; MemoryBound: 0
; FloatMode: 240
; IeeeMode: 1
; LDSByteSize: 21600 bytes/workgroup (compile time only)
; SGPRBlocks: 2
; VGPRBlocks: 31
; NumSGPRsForWavesPerEU: 22
; NumVGPRsForWavesPerEU: 256
; Occupancy: 5
; WaveLimiterHint : 1
; COMPUTE_PGM_RSRC2:SCRATCH_EN: 1
; COMPUTE_PGM_RSRC2:USER_SGPR: 15
; COMPUTE_PGM_RSRC2:TRAP_HANDLER: 0
; COMPUTE_PGM_RSRC2:TGID_X_EN: 1
; COMPUTE_PGM_RSRC2:TGID_Y_EN: 0
; COMPUTE_PGM_RSRC2:TGID_Z_EN: 0
; COMPUTE_PGM_RSRC2:TIDIG_COMP_CNT: 0
	.text
	.p2alignl 7, 3214868480
	.fill 96, 4, 3214868480
	.type	__hip_cuid_5baafd66c91abd8c,@object ; @__hip_cuid_5baafd66c91abd8c
	.section	.bss,"aw",@nobits
	.globl	__hip_cuid_5baafd66c91abd8c
__hip_cuid_5baafd66c91abd8c:
	.byte	0                               ; 0x0
	.size	__hip_cuid_5baafd66c91abd8c, 1

	.ident	"AMD clang version 19.0.0git (https://github.com/RadeonOpenCompute/llvm-project roc-6.4.0 25133 c7fe45cf4b819c5991fe208aaa96edf142730f1d)"
	.section	".note.GNU-stack","",@progbits
	.addrsig
	.addrsig_sym __hip_cuid_5baafd66c91abd8c
	.amdgpu_metadata
---
amdhsa.kernels:
  - .args:
      - .actual_access:  read_only
        .address_space:  global
        .offset:         0
        .size:           8
        .value_kind:     global_buffer
      - .actual_access:  read_only
        .address_space:  global
        .offset:         8
        .size:           8
        .value_kind:     global_buffer
      - .actual_access:  read_only
        .address_space:  global
        .offset:         16
        .size:           8
        .value_kind:     global_buffer
      - .actual_access:  read_only
        .address_space:  global
        .offset:         24
        .size:           8
        .value_kind:     global_buffer
      - .actual_access:  read_only
        .address_space:  global
        .offset:         32
        .size:           8
        .value_kind:     global_buffer
      - .offset:         40
        .size:           8
        .value_kind:     by_value
      - .address_space:  global
        .offset:         48
        .size:           8
        .value_kind:     global_buffer
      - .address_space:  global
        .offset:         56
        .size:           8
        .value_kind:     global_buffer
      - .address_space:  global
        .offset:         64
        .size:           8
        .value_kind:     global_buffer
      - .address_space:  global
        .offset:         72
        .size:           8
        .value_kind:     global_buffer
      - .offset:         80
        .size:           4
        .value_kind:     by_value
      - .address_space:  global
        .offset:         88
        .size:           8
        .value_kind:     global_buffer
      - .address_space:  global
        .offset:         96
        .size:           8
        .value_kind:     global_buffer
    .group_segment_fixed_size: 21600
    .kernarg_segment_align: 8
    .kernarg_segment_size: 104
    .language:       OpenCL C
    .language_version:
      - 2
      - 0
    .max_flat_workgroup_size: 90
    .name:           bluestein_single_back_len2700_dim1_sp_op_CI_CI
    .private_segment_fixed_size: 492
    .sgpr_count:     22
    .sgpr_spill_count: 0
    .symbol:         bluestein_single_back_len2700_dim1_sp_op_CI_CI.kd
    .uniform_work_group_size: 1
    .uses_dynamic_stack: false
    .vgpr_count:     256
    .vgpr_spill_count: 122
    .wavefront_size: 32
    .workgroup_processor_mode: 1
amdhsa.target:   amdgcn-amd-amdhsa--gfx1100
amdhsa.version:
  - 1
  - 2
...

	.end_amdgpu_metadata
